;; amdgpu-corpus repo=ROCm/rocFFT kind=compiled arch=gfx1030 opt=O3
	.text
	.amdgcn_target "amdgcn-amd-amdhsa--gfx1030"
	.amdhsa_code_object_version 6
	.protected	fft_rtc_fwd_len1925_factors_7_11_5_5_wgs_55_tpt_55_halfLds_dp_op_CI_CI_sbrr_dirReg ; -- Begin function fft_rtc_fwd_len1925_factors_7_11_5_5_wgs_55_tpt_55_halfLds_dp_op_CI_CI_sbrr_dirReg
	.globl	fft_rtc_fwd_len1925_factors_7_11_5_5_wgs_55_tpt_55_halfLds_dp_op_CI_CI_sbrr_dirReg
	.p2align	8
	.type	fft_rtc_fwd_len1925_factors_7_11_5_5_wgs_55_tpt_55_halfLds_dp_op_CI_CI_sbrr_dirReg,@function
fft_rtc_fwd_len1925_factors_7_11_5_5_wgs_55_tpt_55_halfLds_dp_op_CI_CI_sbrr_dirReg: ; @fft_rtc_fwd_len1925_factors_7_11_5_5_wgs_55_tpt_55_halfLds_dp_op_CI_CI_sbrr_dirReg
; %bb.0:
	s_clause 0x2
	s_load_dwordx4 s[16:19], s[4:5], 0x18
	s_load_dwordx4 s[12:15], s[4:5], 0x0
	;; [unrolled: 1-line block ×3, first 2 shown]
	s_mov_b64 s[42:43], s[2:3]
	s_mov_b64 s[40:41], s[0:1]
	v_mul_u32_u24_e32 v2, 0x4a8, v0
	v_mov_b32_e32 v1, 0
	v_mov_b32_e32 v4, 0
	v_mov_b32_e32 v5, 0
	s_add_u32 s40, s40, s7
	v_add_nc_u32_sdwa v6, s6, v2 dst_sel:DWORD dst_unused:UNUSED_PAD src0_sel:DWORD src1_sel:WORD_1
	v_mov_b32_e32 v7, v1
	s_addc_u32 s41, s41, 0
	s_waitcnt lgkmcnt(0)
	s_load_dwordx2 s[20:21], s[16:17], 0x0
	s_load_dwordx2 s[2:3], s[18:19], 0x0
	v_cmp_lt_u64_e64 s0, s[14:15], 2
	s_and_b32 vcc_lo, exec_lo, s0
	s_cbranch_vccnz .LBB0_8
; %bb.1:
	s_load_dwordx2 s[0:1], s[4:5], 0x10
	v_mov_b32_e32 v4, 0
	v_mov_b32_e32 v5, 0
	s_add_u32 s6, s18, 8
	s_addc_u32 s7, s19, 0
	s_add_u32 s22, s16, 8
	s_addc_u32 s23, s17, 0
	v_mov_b32_e32 v219, v5
	v_mov_b32_e32 v218, v4
	s_mov_b64 s[26:27], 1
	s_waitcnt lgkmcnt(0)
	s_add_u32 s24, s0, 8
	s_addc_u32 s25, s1, 0
.LBB0_2:                                ; =>This Inner Loop Header: Depth=1
	s_load_dwordx2 s[28:29], s[24:25], 0x0
                                        ; implicit-def: $vgpr220_vgpr221
	s_mov_b32 s0, exec_lo
	s_waitcnt lgkmcnt(0)
	v_or_b32_e32 v2, s29, v7
	v_cmpx_ne_u64_e32 0, v[1:2]
	s_xor_b32 s1, exec_lo, s0
	s_cbranch_execz .LBB0_4
; %bb.3:                                ;   in Loop: Header=BB0_2 Depth=1
	v_cvt_f32_u32_e32 v2, s28
	v_cvt_f32_u32_e32 v3, s29
	s_sub_u32 s0, 0, s28
	s_subb_u32 s30, 0, s29
	v_fmac_f32_e32 v2, 0x4f800000, v3
	v_rcp_f32_e32 v2, v2
	v_mul_f32_e32 v2, 0x5f7ffffc, v2
	v_mul_f32_e32 v3, 0x2f800000, v2
	v_trunc_f32_e32 v3, v3
	v_fmac_f32_e32 v2, 0xcf800000, v3
	v_cvt_u32_f32_e32 v3, v3
	v_cvt_u32_f32_e32 v2, v2
	v_mul_lo_u32 v8, s0, v3
	v_mul_hi_u32 v9, s0, v2
	v_mul_lo_u32 v10, s30, v2
	v_add_nc_u32_e32 v8, v9, v8
	v_mul_lo_u32 v9, s0, v2
	v_add_nc_u32_e32 v8, v8, v10
	v_mul_hi_u32 v10, v2, v9
	v_mul_lo_u32 v11, v2, v8
	v_mul_hi_u32 v12, v2, v8
	v_mul_hi_u32 v13, v3, v9
	v_mul_lo_u32 v9, v3, v9
	v_mul_hi_u32 v14, v3, v8
	v_mul_lo_u32 v8, v3, v8
	v_add_co_u32 v10, vcc_lo, v10, v11
	v_add_co_ci_u32_e32 v11, vcc_lo, 0, v12, vcc_lo
	v_add_co_u32 v9, vcc_lo, v10, v9
	v_add_co_ci_u32_e32 v9, vcc_lo, v11, v13, vcc_lo
	v_add_co_ci_u32_e32 v10, vcc_lo, 0, v14, vcc_lo
	v_add_co_u32 v8, vcc_lo, v9, v8
	v_add_co_ci_u32_e32 v9, vcc_lo, 0, v10, vcc_lo
	v_add_co_u32 v2, vcc_lo, v2, v8
	v_add_co_ci_u32_e32 v3, vcc_lo, v3, v9, vcc_lo
	v_mul_hi_u32 v8, s0, v2
	v_mul_lo_u32 v10, s30, v2
	v_mul_lo_u32 v9, s0, v3
	v_add_nc_u32_e32 v8, v8, v9
	v_mul_lo_u32 v9, s0, v2
	v_add_nc_u32_e32 v8, v8, v10
	v_mul_hi_u32 v10, v2, v9
	v_mul_lo_u32 v11, v2, v8
	v_mul_hi_u32 v12, v2, v8
	v_mul_hi_u32 v13, v3, v9
	v_mul_lo_u32 v9, v3, v9
	v_mul_hi_u32 v14, v3, v8
	v_mul_lo_u32 v8, v3, v8
	v_add_co_u32 v10, vcc_lo, v10, v11
	v_add_co_ci_u32_e32 v11, vcc_lo, 0, v12, vcc_lo
	v_add_co_u32 v9, vcc_lo, v10, v9
	v_add_co_ci_u32_e32 v9, vcc_lo, v11, v13, vcc_lo
	v_add_co_ci_u32_e32 v10, vcc_lo, 0, v14, vcc_lo
	v_add_co_u32 v8, vcc_lo, v9, v8
	v_add_co_ci_u32_e32 v9, vcc_lo, 0, v10, vcc_lo
	v_add_co_u32 v8, vcc_lo, v2, v8
	v_add_co_ci_u32_e32 v10, vcc_lo, v3, v9, vcc_lo
	v_mul_hi_u32 v12, v6, v8
	v_mad_u64_u32 v[8:9], null, v7, v8, 0
	v_mad_u64_u32 v[2:3], null, v6, v10, 0
	;; [unrolled: 1-line block ×3, first 2 shown]
	v_add_co_u32 v2, vcc_lo, v12, v2
	v_add_co_ci_u32_e32 v3, vcc_lo, 0, v3, vcc_lo
	v_add_co_u32 v2, vcc_lo, v2, v8
	v_add_co_ci_u32_e32 v2, vcc_lo, v3, v9, vcc_lo
	v_add_co_ci_u32_e32 v3, vcc_lo, 0, v11, vcc_lo
	v_add_co_u32 v8, vcc_lo, v2, v10
	v_add_co_ci_u32_e32 v9, vcc_lo, 0, v3, vcc_lo
	v_mul_lo_u32 v10, s29, v8
	v_mad_u64_u32 v[2:3], null, s28, v8, 0
	v_mul_lo_u32 v11, s28, v9
	v_sub_co_u32 v2, vcc_lo, v6, v2
	v_add3_u32 v3, v3, v11, v10
	v_sub_nc_u32_e32 v10, v7, v3
	v_subrev_co_ci_u32_e64 v10, s0, s29, v10, vcc_lo
	v_add_co_u32 v11, s0, v8, 2
	v_add_co_ci_u32_e64 v12, s0, 0, v9, s0
	v_sub_co_u32 v13, s0, v2, s28
	v_sub_co_ci_u32_e32 v3, vcc_lo, v7, v3, vcc_lo
	v_subrev_co_ci_u32_e64 v10, s0, 0, v10, s0
	v_cmp_le_u32_e32 vcc_lo, s28, v13
	v_cmp_eq_u32_e64 s0, s29, v3
	v_cndmask_b32_e64 v13, 0, -1, vcc_lo
	v_cmp_le_u32_e32 vcc_lo, s29, v10
	v_cndmask_b32_e64 v14, 0, -1, vcc_lo
	v_cmp_le_u32_e32 vcc_lo, s28, v2
	;; [unrolled: 2-line block ×3, first 2 shown]
	v_cndmask_b32_e64 v15, 0, -1, vcc_lo
	v_cmp_eq_u32_e32 vcc_lo, s29, v10
	v_cndmask_b32_e64 v2, v15, v2, s0
	v_cndmask_b32_e32 v10, v14, v13, vcc_lo
	v_add_co_u32 v13, vcc_lo, v8, 1
	v_add_co_ci_u32_e32 v14, vcc_lo, 0, v9, vcc_lo
	v_cmp_ne_u32_e32 vcc_lo, 0, v10
	v_cndmask_b32_e32 v3, v14, v12, vcc_lo
	v_cndmask_b32_e32 v10, v13, v11, vcc_lo
	v_cmp_ne_u32_e32 vcc_lo, 0, v2
	v_cndmask_b32_e32 v221, v9, v3, vcc_lo
	v_cndmask_b32_e32 v220, v8, v10, vcc_lo
.LBB0_4:                                ;   in Loop: Header=BB0_2 Depth=1
	s_andn2_saveexec_b32 s0, s1
	s_cbranch_execz .LBB0_6
; %bb.5:                                ;   in Loop: Header=BB0_2 Depth=1
	v_cvt_f32_u32_e32 v2, s28
	s_sub_i32 s1, 0, s28
	v_mov_b32_e32 v221, v1
	v_rcp_iflag_f32_e32 v2, v2
	v_mul_f32_e32 v2, 0x4f7ffffe, v2
	v_cvt_u32_f32_e32 v2, v2
	v_mul_lo_u32 v3, s1, v2
	v_mul_hi_u32 v3, v2, v3
	v_add_nc_u32_e32 v2, v2, v3
	v_mul_hi_u32 v2, v6, v2
	v_mul_lo_u32 v3, v2, s28
	v_add_nc_u32_e32 v8, 1, v2
	v_sub_nc_u32_e32 v3, v6, v3
	v_subrev_nc_u32_e32 v9, s28, v3
	v_cmp_le_u32_e32 vcc_lo, s28, v3
	v_cndmask_b32_e32 v3, v3, v9, vcc_lo
	v_cndmask_b32_e32 v2, v2, v8, vcc_lo
	v_cmp_le_u32_e32 vcc_lo, s28, v3
	v_add_nc_u32_e32 v8, 1, v2
	v_cndmask_b32_e32 v220, v2, v8, vcc_lo
.LBB0_6:                                ;   in Loop: Header=BB0_2 Depth=1
	s_or_b32 exec_lo, exec_lo, s0
	v_mul_lo_u32 v8, v221, s28
	v_mul_lo_u32 v9, v220, s29
	s_load_dwordx2 s[0:1], s[22:23], 0x0
	v_mad_u64_u32 v[2:3], null, v220, s28, 0
	s_load_dwordx2 s[28:29], s[6:7], 0x0
	s_add_u32 s26, s26, 1
	s_addc_u32 s27, s27, 0
	s_add_u32 s6, s6, 8
	s_addc_u32 s7, s7, 0
	s_add_u32 s22, s22, 8
	v_add3_u32 v3, v3, v9, v8
	v_sub_co_u32 v2, vcc_lo, v6, v2
	s_addc_u32 s23, s23, 0
	s_add_u32 s24, s24, 8
	v_sub_co_ci_u32_e32 v3, vcc_lo, v7, v3, vcc_lo
	s_addc_u32 s25, s25, 0
	s_waitcnt lgkmcnt(0)
	v_mul_lo_u32 v6, s0, v3
	v_mul_lo_u32 v7, s1, v2
	v_mad_u64_u32 v[4:5], null, s0, v2, v[4:5]
	v_mul_lo_u32 v3, s28, v3
	v_mul_lo_u32 v8, s29, v2
	v_mad_u64_u32 v[218:219], null, s28, v2, v[218:219]
	v_cmp_ge_u64_e64 s0, s[26:27], s[14:15]
	v_add3_u32 v5, v7, v5, v6
	v_add3_u32 v219, v8, v219, v3
	s_and_b32 vcc_lo, exec_lo, s0
	s_cbranch_vccnz .LBB0_9
; %bb.7:                                ;   in Loop: Header=BB0_2 Depth=1
	v_mov_b32_e32 v6, v220
	v_mov_b32_e32 v7, v221
	s_branch .LBB0_2
.LBB0_8:
	v_mov_b32_e32 v219, v5
	v_mov_b32_e32 v221, v7
	;; [unrolled: 1-line block ×4, first 2 shown]
.LBB0_9:
	s_load_dwordx2 s[0:1], s[4:5], 0x28
	v_mul_hi_u32 v1, 0x4a7904b, v0
	s_lshl_b64 s[6:7], s[14:15], 3
                                        ; implicit-def: $vgpr238
                                        ; implicit-def: $vgpr237
                                        ; implicit-def: $vgpr76
                                        ; implicit-def: $vgpr77
                                        ; implicit-def: $vgpr231
	s_add_u32 s4, s18, s6
	s_addc_u32 s5, s19, s7
	s_waitcnt lgkmcnt(0)
	v_cmp_gt_u64_e32 vcc_lo, s[0:1], v[220:221]
	v_cmp_le_u64_e64 s0, s[0:1], v[220:221]
	s_and_saveexec_b32 s1, s0
	s_xor_b32 s0, exec_lo, s1
; %bb.10:
	v_mul_u32_u24_e32 v1, 55, v1
                                        ; implicit-def: $vgpr4_vgpr5
	v_sub_nc_u32_e32 v238, v0, v1
                                        ; implicit-def: $vgpr1
                                        ; implicit-def: $vgpr0
	v_add_nc_u32_e32 v237, 55, v238
	v_add_nc_u32_e32 v76, 0x6e, v238
	v_add_nc_u32_e32 v77, 0xa5, v238
	v_add_nc_u32_e32 v231, 0xdc, v238
; %bb.11:
	s_or_saveexec_b32 s1, s0
                                        ; implicit-def: $vgpr120_vgpr121
                                        ; implicit-def: $vgpr112_vgpr113
                                        ; implicit-def: $vgpr104_vgpr105
                                        ; implicit-def: $vgpr100_vgpr101
                                        ; implicit-def: $vgpr108_vgpr109
                                        ; implicit-def: $vgpr116_vgpr117
                                        ; implicit-def: $vgpr2_vgpr3
                                        ; implicit-def: $vgpr144_vgpr145
                                        ; implicit-def: $vgpr136_vgpr137
                                        ; implicit-def: $vgpr128_vgpr129
                                        ; implicit-def: $vgpr124_vgpr125
                                        ; implicit-def: $vgpr132_vgpr133
                                        ; implicit-def: $vgpr140_vgpr141
                                        ; implicit-def: $vgpr84_vgpr85
                                        ; implicit-def: $vgpr168_vgpr169
                                        ; implicit-def: $vgpr160_vgpr161
                                        ; implicit-def: $vgpr152_vgpr153
                                        ; implicit-def: $vgpr148_vgpr149
                                        ; implicit-def: $vgpr156_vgpr157
                                        ; implicit-def: $vgpr164_vgpr165
                                        ; implicit-def: $vgpr88_vgpr89
                                        ; implicit-def: $vgpr192_vgpr193
                                        ; implicit-def: $vgpr184_vgpr185
                                        ; implicit-def: $vgpr176_vgpr177
                                        ; implicit-def: $vgpr172_vgpr173
                                        ; implicit-def: $vgpr180_vgpr181
                                        ; implicit-def: $vgpr188_vgpr189
                                        ; implicit-def: $vgpr96_vgpr97
                                        ; implicit-def: $vgpr216_vgpr217
                                        ; implicit-def: $vgpr212_vgpr213
                                        ; implicit-def: $vgpr208_vgpr209
                                        ; implicit-def: $vgpr200_vgpr201
                                        ; implicit-def: $vgpr204_vgpr205
                                        ; implicit-def: $vgpr196_vgpr197
                                        ; implicit-def: $vgpr92_vgpr93
	s_xor_b32 exec_lo, exec_lo, s1
	s_cbranch_execz .LBB0_13
; %bb.12:
	s_add_u32 s6, s16, s6
	s_addc_u32 s7, s17, s7
	v_mul_u32_u24_e32 v1, 55, v1
	s_load_dwordx2 s[6:7], s[6:7], 0x0
	v_lshlrev_b64 v[2:3], 4, v[4:5]
	v_sub_nc_u32_e32 v238, v0, v1
	v_add_nc_u32_e32 v13, 0x113, v238
	v_add_nc_u32_e32 v16, 0x226, v238
	v_mad_u64_u32 v[0:1], null, s20, v238, 0
	v_add_nc_u32_e32 v17, 0x339, v238
	v_mad_u64_u32 v[4:5], null, s20, v13, 0
	v_mad_u64_u32 v[6:7], null, s20, v16, 0
	v_add_nc_u32_e32 v18, 0x44c, v238
	v_mad_u64_u32 v[10:11], null, s21, v238, v[1:2]
	s_waitcnt lgkmcnt(0)
	v_mul_lo_u32 v14, s7, v220
	v_mul_lo_u32 v15, s6, v221
	v_mad_u64_u32 v[8:9], null, s6, v220, 0
	v_mov_b32_e32 v1, v5
	v_mad_u64_u32 v[11:12], null, s20, v17, 0
	v_mov_b32_e32 v5, v7
	v_add_nc_u32_e32 v237, 55, v238
	v_add_nc_u32_e32 v22, 0x14a, v238
	v_add3_u32 v9, v9, v15, v14
	v_mad_u64_u32 v[13:14], null, s21, v13, v[1:2]
	v_mov_b32_e32 v1, v10
	v_mad_u64_u32 v[14:15], null, s20, v18, 0
	v_lshlrev_b64 v[7:8], 4, v[8:9]
	v_mad_u64_u32 v[9:10], null, s21, v16, v[5:6]
	v_mov_b32_e32 v10, v12
	v_mov_b32_e32 v5, v13
	v_lshlrev_b64 v[0:1], 4, v[0:1]
	v_add_co_u32 v12, s0, s8, v7
	v_add_co_ci_u32_e64 v8, s0, s9, v8, s0
	v_mov_b32_e32 v7, v9
	v_add_co_u32 v28, s0, v12, v2
	v_add_co_ci_u32_e64 v29, s0, v8, v3, s0
	v_lshlrev_b64 v[2:3], 4, v[4:5]
	v_mad_u64_u32 v[4:5], null, s21, v17, v[10:11]
	v_add_nc_u32_e32 v10, 0x55f, v238
	v_lshlrev_b64 v[5:6], 4, v[6:7]
	v_mov_b32_e32 v7, v15
	v_add_co_u32 v0, s0, v28, v0
	v_mad_u64_u32 v[16:17], null, s20, v10, 0
	v_add_co_ci_u32_e64 v1, s0, v29, v1, s0
	v_mov_b32_e32 v12, v4
	v_mad_u64_u32 v[7:8], null, s21, v18, v[7:8]
	v_add_co_u32 v2, s0, v28, v2
	v_add_nc_u32_e32 v18, 0x672, v238
	v_add_co_ci_u32_e64 v3, s0, v29, v3, s0
	v_add_co_u32 v4, s0, v28, v5
	v_lshlrev_b64 v[8:9], 4, v[11:12]
	v_add_co_ci_u32_e64 v5, s0, v29, v6, s0
	v_mov_b32_e32 v6, v17
	v_mad_u64_u32 v[12:13], null, s20, v18, 0
	v_mov_b32_e32 v15, v7
	v_add_nc_u32_e32 v24, 0x25d, v238
	v_mad_u64_u32 v[10:11], null, s21, v10, v[6:7]
	v_add_co_u32 v6, s0, v28, v8
	v_add_co_ci_u32_e64 v7, s0, v29, v9, s0
	v_lshlrev_b64 v[8:9], 4, v[14:15]
	v_mad_u64_u32 v[14:15], null, s20, v237, 0
	v_mov_b32_e32 v11, v13
	v_mov_b32_e32 v17, v10
	v_add_nc_u32_e32 v26, 0x370, v238
	v_add_co_u32 v8, s0, v28, v8
	v_mad_u64_u32 v[10:11], null, s21, v18, v[11:12]
	v_mov_b32_e32 v11, v15
	v_mad_u64_u32 v[18:19], null, s20, v22, 0
	v_lshlrev_b64 v[16:17], 4, v[16:17]
	v_add_co_ci_u32_e64 v9, s0, v29, v9, s0
	v_mad_u64_u32 v[20:21], null, s21, v237, v[11:12]
	v_mov_b32_e32 v13, v10
	v_add_co_u32 v10, s0, v28, v16
	v_mov_b32_e32 v16, v19
	v_add_co_ci_u32_e64 v11, s0, v29, v17, s0
	v_mov_b32_e32 v15, v20
	v_mad_u64_u32 v[20:21], null, s20, v24, 0
	v_mad_u64_u32 v[16:17], null, s21, v22, v[16:17]
	;; [unrolled: 1-line block ×3, first 2 shown]
	v_lshlrev_b64 v[12:13], 4, v[12:13]
	v_add_nc_u32_e32 v30, 0x483, v238
	v_mov_b32_e32 v17, v21
	v_lshlrev_b64 v[14:15], 4, v[14:15]
	v_mov_b32_e32 v19, v16
	v_add_nc_u32_e32 v32, 0x596, v238
	v_add_co_u32 v12, s0, v28, v12
	v_mad_u64_u32 v[16:17], null, s21, v24, v[17:18]
	v_lshlrev_b64 v[17:18], 4, v[18:19]
	v_mov_b32_e32 v19, v23
	v_mad_u64_u32 v[24:25], null, s20, v30, 0
	v_add_co_ci_u32_e64 v13, s0, v29, v13, s0
	v_mad_u64_u32 v[26:27], null, s21, v26, v[19:20]
	v_add_co_u32 v14, s0, v28, v14
	v_mov_b32_e32 v21, v16
	v_add_co_ci_u32_e64 v15, s0, v29, v15, s0
	v_add_co_u32 v16, s0, v28, v17
	v_mov_b32_e32 v23, v26
	v_mad_u64_u32 v[26:27], null, s20, v32, 0
	v_add_co_ci_u32_e64 v17, s0, v29, v18, s0
	v_lshlrev_b64 v[18:19], 4, v[20:21]
	v_mov_b32_e32 v20, v25
	v_add_nc_u32_e32 v34, 0x6a9, v238
	v_add_nc_u32_e32 v76, 0x6e, v238
	v_add_nc_u32_e32 v38, 0x181, v238
	v_add_nc_u32_e32 v40, 0x294, v238
	v_mad_u64_u32 v[20:21], null, s21, v30, v[20:21]
	v_lshlrev_b64 v[21:22], 4, v[22:23]
	v_mov_b32_e32 v23, v27
	v_mad_u64_u32 v[30:31], null, s20, v34, 0
	v_add_co_u32 v18, s0, v28, v18
	v_mad_u64_u32 v[32:33], null, s21, v32, v[23:24]
	v_mov_b32_e32 v25, v20
	v_add_co_ci_u32_e64 v19, s0, v29, v19, s0
	v_add_co_u32 v20, s0, v28, v21
	v_add_co_ci_u32_e64 v21, s0, v29, v22, s0
	v_mov_b32_e32 v27, v32
	v_mad_u64_u32 v[32:33], null, s20, v76, 0
	v_lshlrev_b64 v[22:23], 4, v[24:25]
	v_mov_b32_e32 v24, v31
	v_add_nc_u32_e32 v42, 0x3a7, v238
	v_add_nc_u32_e32 v44, 0x4ba, v238
	v_add_nc_u32_e32 v46, 0x5cd, v238
	v_add_nc_u32_e32 v48, 0x6e0, v238
	v_mad_u64_u32 v[24:25], null, s21, v34, v[24:25]
	v_lshlrev_b64 v[25:26], 4, v[26:27]
	v_mov_b32_e32 v27, v33
	v_mad_u64_u32 v[34:35], null, s20, v38, 0
	v_add_co_u32 v22, s0, v28, v22
	v_mad_u64_u32 v[36:37], null, s21, v76, v[27:28]
	v_mov_b32_e32 v31, v24
	v_add_co_ci_u32_e64 v23, s0, v29, v23, s0
	v_add_co_u32 v24, s0, v28, v25
	v_add_co_ci_u32_e64 v25, s0, v29, v26, s0
	v_mov_b32_e32 v33, v36
	v_mad_u64_u32 v[36:37], null, s20, v40, 0
	;; [unrolled: 18-line block ×3, first 2 shown]
	v_lshlrev_b64 v[32:33], 4, v[34:35]
	v_mov_b32_e32 v34, v39
	v_mad_u64_u32 v[50:51], null, s20, v54, 0
	v_add_nc_u32_e32 v59, 0x4f1, v238
	v_add_nc_u32_e32 v60, 0x604, v238
	v_mad_u64_u32 v[34:35], null, s21, v42, v[34:35]
	v_lshlrev_b64 v[35:36], 4, v[36:37]
	v_mov_b32_e32 v37, v41
	v_mad_u64_u32 v[42:43], null, s20, v46, 0
	v_add_co_u32 v32, s0, v28, v32
	v_mad_u64_u32 v[44:45], null, s21, v44, v[37:38]
	v_mov_b32_e32 v39, v34
	v_add_co_ci_u32_e64 v33, s0, v29, v33, s0
	v_add_co_u32 v34, s0, v28, v35
	v_add_co_ci_u32_e64 v35, s0, v29, v36, s0
	v_mov_b32_e32 v41, v44
	v_mad_u64_u32 v[44:45], null, s20, v48, 0
	v_lshlrev_b64 v[36:37], 4, v[38:39]
	v_mov_b32_e32 v38, v43
	v_add_nc_u32_e32 v61, 0x717, v238
	v_add_nc_u32_e32 v231, 0xdc, v238
	;; [unrolled: 1-line block ×4, first 2 shown]
	v_mad_u64_u32 v[38:39], null, s21, v46, v[38:39]
	v_lshlrev_b64 v[39:40], 4, v[40:41]
	v_mov_b32_e32 v41, v45
	v_mad_u64_u32 v[46:47], null, s20, v77, 0
	v_add_co_u32 v36, s0, v28, v36
	v_mad_u64_u32 v[48:49], null, s21, v48, v[41:42]
	v_mov_b32_e32 v43, v38
	v_add_co_ci_u32_e64 v37, s0, v29, v37, s0
	v_add_co_u32 v38, s0, v28, v39
	v_add_co_ci_u32_e64 v39, s0, v29, v40, s0
	v_mov_b32_e32 v45, v48
	v_mad_u64_u32 v[48:49], null, s20, v52, 0
	v_lshlrev_b64 v[40:41], 4, v[42:43]
	v_mov_b32_e32 v42, v47
	v_add_nc_u32_e32 v70, 0x415, v238
	v_add_nc_u32_e32 v71, 0x528, v238
	;; [unrolled: 1-line block ×3, first 2 shown]
	s_clause 0x1
	global_load_dwordx4 v[90:93], v[0:1], off
	global_load_dwordx4 v[194:197], v[2:3], off
	v_mad_u64_u32 v[42:43], null, s21, v77, v[42:43]
	v_lshlrev_b64 v[43:44], 4, v[44:45]
	v_mov_b32_e32 v45, v49
	v_add_co_u32 v40, s0, v28, v40
	v_add_co_ci_u32_e64 v41, s0, v29, v41, s0
	v_mad_u64_u32 v[52:53], null, s21, v52, v[45:46]
	v_mov_b32_e32 v47, v42
	v_add_co_u32 v42, s0, v28, v43
	v_add_co_ci_u32_e64 v43, s0, v29, v44, s0
	v_lshlrev_b64 v[44:45], 4, v[46:47]
	v_mov_b32_e32 v49, v52
	v_mad_u64_u32 v[52:53], null, s20, v56, 0
	v_mov_b32_e32 v46, v51
	s_clause 0x1
	global_load_dwordx4 v[202:205], v[4:5], off
	global_load_dwordx4 v[198:201], v[6:7], off
	v_add_co_u32 v44, s0, v28, v44
	v_add_co_ci_u32_e64 v45, s0, v29, v45, s0
	v_mad_u64_u32 v[46:47], null, s21, v54, v[46:47]
	v_lshlrev_b64 v[47:48], 4, v[48:49]
	v_mov_b32_e32 v49, v53
	v_mad_u64_u32 v[54:55], null, s20, v59, 0
	s_clause 0x1
	global_load_dwordx4 v[206:209], v[8:9], off
	global_load_dwordx4 v[210:213], v[10:11], off
	v_mad_u64_u32 v[56:57], null, s21, v56, v[49:50]
	v_mov_b32_e32 v51, v46
	v_add_co_u32 v46, s0, v28, v47
	v_add_co_ci_u32_e64 v47, s0, v29, v48, s0
	v_lshlrev_b64 v[48:49], 4, v[50:51]
	v_mov_b32_e32 v50, v55
	v_mad_u64_u32 v[57:58], null, s20, v60, 0
	v_mov_b32_e32 v53, v56
	v_mad_u64_u32 v[50:51], null, s21, v59, v[50:51]
	v_add_co_u32 v48, s0, v28, v48
	v_lshlrev_b64 v[52:53], 4, v[52:53]
	v_mov_b32_e32 v51, v58
	v_add_co_ci_u32_e64 v49, s0, v29, v49, s0
	v_mov_b32_e32 v55, v50
	v_mad_u64_u32 v[50:51], null, s21, v60, v[51:52]
	v_mad_u64_u32 v[59:60], null, s20, v61, 0
	v_add_co_u32 v51, s0, v28, v52
	v_add_co_ci_u32_e64 v52, s0, v29, v53, s0
	v_mov_b32_e32 v58, v50
	v_lshlrev_b64 v[53:54], 4, v[54:55]
	v_mov_b32_e32 v50, v60
	v_mad_u64_u32 v[55:56], null, s20, v231, 0
	v_mad_u64_u32 v[60:61], null, s21, v61, v[50:51]
	;; [unrolled: 1-line block ×3, first 2 shown]
	v_mov_b32_e32 v50, v56
	v_lshlrev_b64 v[56:57], 4, v[57:58]
	v_add_co_u32 v53, s0, v28, v53
	v_add_co_ci_u32_e64 v54, s0, v29, v54, s0
	v_mad_u64_u32 v[63:64], null, s21, v231, v[50:51]
	v_mov_b32_e32 v50, v62
	v_add_co_u32 v66, s0, v28, v56
	v_mad_u64_u32 v[64:65], null, s20, v69, 0
	v_add_co_ci_u32_e64 v67, s0, v29, v57, s0
	v_lshlrev_b64 v[57:58], 4, v[59:60]
	v_mad_u64_u32 v[59:60], null, s21, v68, v[50:51]
	v_mov_b32_e32 v56, v63
	v_mov_b32_e32 v50, v65
	v_add_co_u32 v57, s0, v28, v57
	v_lshlrev_b64 v[55:56], 4, v[55:56]
	v_mov_b32_e32 v62, v59
	v_mad_u64_u32 v[59:60], null, s21, v69, v[50:51]
	v_mad_u64_u32 v[68:69], null, s20, v71, 0
	v_lshlrev_b64 v[60:61], 4, v[61:62]
	v_mad_u64_u32 v[62:63], null, s20, v70, 0
	v_add_co_ci_u32_e64 v58, s0, v29, v58, s0
	v_add_co_u32 v55, s0, v28, v55
	v_add_co_ci_u32_e64 v56, s0, v29, v56, s0
	v_mov_b32_e32 v65, v59
	v_add_co_u32 v59, s0, v28, v60
	v_mov_b32_e32 v50, v63
	v_add_co_ci_u32_e64 v60, s0, v29, v61, s0
	v_mov_b32_e32 v61, v69
	v_lshlrev_b64 v[63:64], 4, v[64:65]
	v_mad_u64_u32 v[69:70], null, s21, v70, v[50:51]
	v_mad_u64_u32 v[70:71], null, s21, v71, v[61:62]
	;; [unrolled: 1-line block ×3, first 2 shown]
	v_add_nc_u32_e32 v61, 0x74e, v238
	v_add_co_u32 v73, s0, v28, v63
	v_add_co_ci_u32_e64 v74, s0, v29, v64, s0
	v_mad_u64_u32 v[64:65], null, s20, v61, 0
	v_mov_b32_e32 v50, v72
	v_mov_b32_e32 v63, v69
	;; [unrolled: 1-line block ×3, first 2 shown]
	v_mad_u64_u32 v[0:1], null, s21, v75, v[50:51]
	v_lshlrev_b64 v[2:3], 4, v[62:63]
	v_mov_b32_e32 v1, v65
	v_mad_u64_u32 v[4:5], null, s21, v61, v[1:2]
	v_mov_b32_e32 v72, v0
	v_lshlrev_b64 v[5:6], 4, v[68:69]
	v_add_co_u32 v61, s0, v28, v2
	v_add_co_ci_u32_e64 v62, s0, v29, v3, s0
	v_mov_b32_e32 v65, v4
	v_lshlrev_b64 v[0:1], 4, v[71:72]
	v_add_co_u32 v4, s0, v28, v5
	v_add_co_ci_u32_e64 v5, s0, v29, v6, s0
	v_lshlrev_b64 v[2:3], 4, v[64:65]
	v_add_co_u32 v6, s0, v28, v0
	v_add_co_ci_u32_e64 v7, s0, v29, v1, s0
	v_add_co_u32 v8, s0, v28, v2
	v_add_co_ci_u32_e64 v9, s0, v29, v3, s0
	s_clause 0x1c
	global_load_dwordx4 v[214:217], v[12:13], off
	global_load_dwordx4 v[94:97], v[14:15], off
	;; [unrolled: 1-line block ×29, first 2 shown]
.LBB0_13:
	s_or_b32 exec_lo, exec_lo, s1
	s_waitcnt vmcnt(28)
	v_add_f64 v[4:5], v[214:215], v[194:195]
	v_add_f64 v[6:7], v[210:211], v[202:203]
	;; [unrolled: 1-line block ×3, first 2 shown]
	v_add_f64 v[10:11], v[204:205], -v[212:213]
	v_add_f64 v[12:13], v[208:209], -v[200:201]
	;; [unrolled: 1-line block ×3, first 2 shown]
	s_waitcnt vmcnt(21)
	v_add_f64 v[18:19], v[190:191], v[186:187]
	v_add_f64 v[20:21], v[182:183], v[178:179]
	s_mov_b32 s16, 0x37e14327
	s_mov_b32 s6, 0x36b3c0b5
	s_mov_b32 s20, 0xe976ee23
	s_mov_b32 s22, 0x429ad128
	s_mov_b32 s17, 0x3fe948f6
	s_mov_b32 s7, 0x3fac98ee
	s_mov_b32 s21, 0xbfe11646
	s_mov_b32 s23, 0x3febfeb5
	v_add_f64 v[22:23], v[174:175], v[170:171]
	v_add_f64 v[24:25], v[180:181], -v[184:185]
	v_add_f64 v[26:27], v[176:177], -v[172:173]
	s_waitcnt vmcnt(14)
	v_add_f64 v[30:31], v[166:167], v[162:163]
	v_add_f64 v[32:33], v[158:159], v[154:155]
	;; [unrolled: 1-line block ×3, first 2 shown]
	s_waitcnt vmcnt(7)
	v_add_f64 v[46:47], v[142:143], v[138:139]
	v_add_f64 v[16:17], v[6:7], v[4:5]
	v_add_f64 v[44:45], v[4:5], -v[8:9]
	v_add_f64 v[50:51], v[134:135], v[130:131]
	v_add_f64 v[42:43], v[12:13], -v[10:11]
	v_add_f64 v[48:49], v[10:11], -v[14:15]
	v_add_f64 v[52:53], v[126:127], v[122:123]
	v_add_f64 v[54:55], v[132:133], -v[136:137]
	v_add_f64 v[56:57], v[128:129], -v[124:125]
	;; [unrolled: 1-line block ×3, first 2 shown]
	s_waitcnt vmcnt(0)
	v_add_f64 v[60:61], v[118:119], v[114:115]
	v_add_f64 v[62:63], v[110:111], v[106:107]
	;; [unrolled: 1-line block ×3, first 2 shown]
	v_add_f64 v[12:13], v[14:15], -v[12:13]
	v_add_f64 v[72:73], v[20:21], v[18:19]
	v_add_f64 v[4:5], v[6:7], -v[4:5]
	v_add_f64 v[28:29], v[188:189], -v[192:193]
	s_mov_b32 s8, 0xaaaaaaaa
	s_mov_b32 s18, 0xb247c609
	;; [unrolled: 1-line block ×6, first 2 shown]
	v_add_f64 v[16:17], v[8:9], v[16:17]
	v_add_f64 v[8:9], v[8:9], -v[6:7]
	v_mul_f64 v[44:45], v[44:45], s[16:17]
	v_mul_f64 v[42:43], v[42:43], s[20:21]
	v_mul_f64 v[6:7], v[48:49], s[22:23]
	s_mov_b32 s27, 0x3fe77f67
	s_mov_b32 s29, 0xbfe77f67
	s_mov_b32 s24, s18
	s_mov_b32 s28, s26
	v_add_f64 v[36:37], v[156:157], -v[160:161]
	v_add_f64 v[38:39], v[152:153], -v[148:149]
	v_add_f64 v[40:41], v[164:165], -v[168:169]
	v_add_f64 v[64:65], v[102:103], v[98:99]
	v_add_f64 v[66:67], v[108:109], -v[112:113]
	v_add_f64 v[68:69], v[104:105], -v[100:101]
	v_mov_b32_e32 v247, v76
	v_mov_b32_e32 v248, v77
	v_add_f64 v[76:77], v[18:19], -v[22:23]
	v_add_f64 v[80:81], v[22:23], -v[20:21]
	;; [unrolled: 1-line block ×4, first 2 shown]
	v_add_f64 v[20:21], v[32:33], v[30:31]
	v_add_f64 v[74:75], v[90:91], v[16:17]
	v_mul_f64 v[78:79], v[8:9], s[6:7]
	v_add_f64 v[224:225], v[30:31], -v[34:35]
	v_add_f64 v[226:227], v[34:35], -v[32:33]
	v_add_f64 v[10:11], v[10:11], v[14:15]
	v_add_f64 v[14:15], v[22:23], v[72:73]
	v_fma_f64 v[22:23], v[12:13], s[18:19], v[42:43]
	v_fma_f64 v[8:9], v[8:9], s[6:7], v[44:45]
	v_fma_f64 v[42:43], v[48:49], s[22:23], -v[42:43]
	v_fma_f64 v[6:7], v[12:13], s[24:25], -v[6:7]
	v_add_f64 v[30:31], v[32:33], -v[30:31]
	v_add_f64 v[32:33], v[50:51], v[46:47]
	v_add_f64 v[48:49], v[52:53], -v[50:51]
	v_add_f64 v[72:73], v[56:57], v[54:55]
	;; [unrolled: 2-line block ×3, first 2 shown]
	v_add_f64 v[24:25], v[24:25], -v[28:29]
	s_mov_b32 s14, 0x37c3f68c
	s_mov_b32 s15, 0x3fdc38aa
	v_add_f64 v[26:27], v[28:29], -v[26:27]
	v_add_f64 v[229:230], v[38:39], v[36:37]
	v_mov_b32_e32 v249, v231
	v_fma_f64 v[12:13], v[16:17], s[8:9], v[74:75]
	v_fma_f64 v[16:17], v[4:5], s[28:29], -v[44:45]
	v_fma_f64 v[4:5], v[4:5], s[26:27], -v[78:79]
	v_add_f64 v[44:45], v[46:47], -v[52:53]
	v_add_f64 v[78:79], v[56:57], -v[54:55]
	;; [unrolled: 1-line block ×4, first 2 shown]
	v_add_f64 v[54:55], v[62:63], v[60:61]
	v_add_f64 v[231:232], v[38:39], -v[36:37]
	v_add_f64 v[36:37], v[36:37], -v[40:41]
	;; [unrolled: 1-line block ×3, first 2 shown]
	v_mul_f64 v[76:77], v[76:77], s[16:17]
	v_mul_f64 v[222:223], v[222:223], s[20:21]
	v_add_f64 v[20:21], v[34:35], v[20:21]
	v_add_f64 v[34:35], v[94:95], v[14:15]
	v_fma_f64 v[22:23], v[10:11], s[14:15], v[22:23]
	v_fma_f64 v[42:43], v[10:11], s[14:15], v[42:43]
	;; [unrolled: 1-line block ×3, first 2 shown]
	v_add_f64 v[32:33], v[52:53], v[32:33]
	v_add_f64 v[235:236], v[64:65], -v[62:63]
	v_add_f64 v[60:61], v[62:63], -v[60:61]
	;; [unrolled: 1-line block ×3, first 2 shown]
	v_add_f64 v[8:9], v[8:9], v[12:13]
	v_add_f64 v[10:11], v[16:17], v[12:13]
	;; [unrolled: 1-line block ×3, first 2 shown]
	v_add_f64 v[16:17], v[68:69], -v[66:67]
	v_add_f64 v[12:13], v[68:69], v[66:67]
	v_mul_f64 v[52:53], v[24:25], s[22:23]
	v_mul_f64 v[66:67], v[80:81], s[6:7]
	v_add_f64 v[54:55], v[64:65], v[54:55]
	v_add_f64 v[38:39], v[40:41], -v[38:39]
	v_add_f64 v[56:57], v[58:59], -v[56:57]
	;; [unrolled: 1-line block ×3, first 2 shown]
	v_add_f64 v[28:29], v[90:91], v[28:29]
	v_add_f64 v[40:41], v[229:230], v[40:41]
	v_mul_f64 v[90:91], v[224:225], s[16:17]
	v_mul_f64 v[94:95], v[231:232], s[20:21]
	;; [unrolled: 1-line block ×4, first 2 shown]
	v_fma_f64 v[64:65], v[26:27], s[18:19], v[222:223]
	v_fma_f64 v[80:81], v[80:81], s[6:7], v[76:77]
	v_add_f64 v[231:232], v[86:87], v[20:21]
	v_fma_f64 v[14:15], v[14:15], s[8:9], v[34:35]
	v_mul_f64 v[44:45], v[44:45], s[16:17]
	v_add_f64 v[86:87], v[22:23], v[8:9]
	v_mul_f64 v[78:79], v[78:79], s[20:21]
	v_add_f64 v[241:242], v[4:5], -v[42:43]
	v_mul_f64 v[243:244], v[48:49], s[6:7]
	v_mul_f64 v[245:246], v[50:51], s[22:23]
	;; [unrolled: 1-line block ×3, first 2 shown]
	v_add_f64 v[82:83], v[82:83], v[32:33]
	v_mul_f64 v[16:17], v[16:17], s[20:21]
	v_add_f64 v[4:5], v[42:43], v[4:5]
	v_add_f64 v[42:43], v[0:1], v[54:55]
	;; [unrolled: 1-line block ×3, first 2 shown]
	v_fma_f64 v[26:27], v[26:27], s[24:25], -v[52:53]
	v_mul_f64 v[52:53], v[235:236], s[6:7]
	v_fma_f64 v[76:77], v[18:19], s[28:29], -v[76:77]
	v_fma_f64 v[18:19], v[18:19], s[26:27], -v[66:67]
	v_mul_f64 v[66:67], v[62:63], s[22:23]
	v_mad_u32_u24 v228, v238, 56, 0
	v_fma_f64 v[24:25], v[24:25], s[22:23], -v[222:223]
	v_add_f64 v[0:1], v[10:11], -v[6:7]
	v_fma_f64 v[6:7], v[38:39], s[18:19], v[94:95]
	v_fma_f64 v[10:11], v[28:29], s[14:15], v[64:65]
	;; [unrolled: 1-line block ×3, first 2 shown]
	v_add_f64 v[64:65], v[80:81], v[14:15]
	ds_write2_b64 v228, v[74:75], v[86:87] offset1:1
	ds_write2_b64 v228, v[239:240], v[241:242] offset0:2 offset1:3
	v_fma_f64 v[74:75], v[226:227], s[6:7], v[90:91]
	v_fma_f64 v[36:37], v[36:37], s[22:23], -v[94:95]
	v_fma_f64 v[38:39], v[38:39], s[24:25], -v[224:225]
	;; [unrolled: 1-line block ×4, first 2 shown]
	v_add_f64 v[58:59], v[72:73], v[58:59]
	v_fma_f64 v[32:33], v[32:33], s[8:9], v[82:83]
	v_fma_f64 v[48:49], v[48:49], s[6:7], v[44:45]
	;; [unrolled: 1-line block ×3, first 2 shown]
	v_fma_f64 v[86:87], v[46:47], s[26:27], -v[243:244]
	v_fma_f64 v[44:45], v[46:47], s[28:29], -v[44:45]
	;; [unrolled: 1-line block ×4, first 2 shown]
	v_add_f64 v[12:13], v[12:13], v[70:71]
	v_fma_f64 v[54:55], v[54:55], s[8:9], v[42:43]
	v_fma_f64 v[56:57], v[235:236], s[6:7], v[233:234]
	;; [unrolled: 1-line block ×3, first 2 shown]
	v_fma_f64 v[52:53], v[60:61], s[26:27], -v[52:53]
	v_fma_f64 v[60:61], v[60:61], s[28:29], -v[233:234]
	;; [unrolled: 1-line block ×4, first 2 shown]
	v_fma_f64 v[24:25], v[28:29], s[14:15], v[24:25]
	v_fma_f64 v[26:27], v[28:29], s[14:15], v[26:27]
	v_add_f64 v[28:29], v[76:77], v[14:15]
	v_add_f64 v[14:15], v[18:19], v[14:15]
	v_fma_f64 v[6:7], v[40:41], s[14:15], v[6:7]
	v_add_f64 v[18:19], v[74:75], v[20:21]
	v_fma_f64 v[36:37], v[40:41], s[14:15], v[36:37]
	v_fma_f64 v[38:39], v[40:41], s[14:15], v[38:39]
	v_add_f64 v[40:41], v[80:81], v[20:21]
	v_add_f64 v[20:21], v[30:31], v[20:21]
	;; [unrolled: 1-line block ×3, first 2 shown]
	v_fma_f64 v[48:49], v[58:59], s[14:15], v[72:73]
	v_add_f64 v[62:63], v[86:87], v[32:33]
	v_add_f64 v[32:33], v[44:45], v[32:33]
	v_fma_f64 v[44:45], v[58:59], s[14:15], v[46:47]
	v_fma_f64 v[46:47], v[58:59], s[14:15], v[50:51]
	v_add_f64 v[50:51], v[56:57], v[54:55]
	v_fma_f64 v[56:57], v[12:13], s[14:15], v[70:71]
	v_add_f64 v[52:53], v[52:53], v[54:55]
	v_add_f64 v[54:55], v[60:61], v[54:55]
	v_fma_f64 v[58:59], v[12:13], s[14:15], v[66:67]
	v_fma_f64 v[12:13], v[12:13], s[14:15], v[16:17]
	v_add_f64 v[16:17], v[8:9], -v[22:23]
	v_add_f64 v[22:23], v[10:11], v[64:65]
	v_add_f64 v[60:61], v[26:27], v[28:29]
	v_add_f64 v[66:67], v[14:15], -v[24:25]
	v_add_f64 v[14:15], v[24:25], v[14:15]
	v_add_f64 v[24:25], v[28:29], -v[26:27]
	v_add_f64 v[10:11], v[64:65], -v[10:11]
	v_add_f64 v[26:27], v[6:7], v[18:19]
	v_add_f64 v[28:29], v[38:39], v[40:41]
	v_add_f64 v[64:65], v[20:21], -v[36:37]
	v_add_f64 v[6:7], v[18:19], -v[6:7]
	v_add_f64 v[18:19], v[48:49], v[30:31]
	v_add_f64 v[20:21], v[36:37], v[20:21]
	v_add_f64 v[36:37], v[40:41], -v[38:39]
	v_add_f64 v[38:39], v[44:45], v[32:33]
	v_add_f64 v[40:41], v[62:63], -v[46:47]
	;; [unrolled: 2-line block ×3, first 2 shown]
	v_add_f64 v[32:33], v[32:33], -v[44:45]
	v_add_f64 v[30:31], v[30:31], -v[48:49]
	v_add_f64 v[44:45], v[56:57], v[50:51]
	v_add_f64 v[48:49], v[58:59], v[54:55]
	v_add_f64 v[62:63], v[52:53], -v[12:13]
	v_add_f64 v[12:13], v[12:13], v[52:53]
	v_add_f64 v[222:223], v[54:55], -v[58:59]
	v_mad_i32_i24 v86, v237, 56, 0
	ds_write2_b64 v228, v[4:5], v[0:1] offset0:4 offset1:5
	v_mad_i32_i24 v87, v247, 56, 0
	v_mad_i32_i24 v0, v248, 56, 0
	;; [unrolled: 1-line block ×4, first 2 shown]
	ds_write_b64 v228, v[16:17] offset:48
	ds_write2_b64 v86, v[34:35], v[22:23] offset1:1
	ds_write2_b64 v86, v[60:61], v[66:67] offset0:2 offset1:3
	ds_write2_b64 v86, v[14:15], v[24:25] offset0:4 offset1:5
	ds_write_b64 v86, v[10:11] offset:48
	ds_write2_b64 v87, v[231:232], v[26:27] offset1:1
	ds_write2_b64 v87, v[28:29], v[64:65] offset0:2 offset1:3
	ds_write2_b64 v87, v[20:21], v[36:37] offset0:4 offset1:5
	;; [unrolled: 4-line block ×4, first 2 shown]
	ds_write_b64 v1, v[8:9] offset:48
	v_mad_i32_i24 v1, 0xffffffd0, v247, v87
	v_mad_i32_i24 v4, 0xffffffd0, v237, v86
	v_add_nc_u32_e32 v231, 0x800, v239
	s_load_dwordx2 s[4:5], s[4:5], 0x0
	s_waitcnt lgkmcnt(0)
	s_barrier
	buffer_gl0_inv
	v_add_nc_u32_e32 v232, 0xc00, v239
	v_add_nc_u32_e32 v90, 0x1000, v239
	;; [unrolled: 1-line block ×9, first 2 shown]
	ds_read_b64 v[224:225], v1
	ds_read_b64 v[226:227], v4
	ds_read_b64 v[234:235], v239 offset:14880
	ds_read2_b64 v[4:7], v239 offset1:175
	ds_read2_b64 v[80:83], v231 offset0:94 offset1:149
	ds_read2_b64 v[56:59], v232 offset0:76 offset1:141
	;; [unrolled: 1-line block ×12, first 2 shown]
	ds_read2_b64 v[36:39], v94 offset1:55
	ds_read2_b64 v[28:31], v95 offset0:94 offset1:149
	v_cmp_gt_u32_e64 s0, 10, v238
	v_mul_i32_i24_e32 v1, 56, v249
	buffer_store_dword v237, off, s[40:43], 0 offset:8 ; 4-byte Folded Spill
	v_mul_i32_i24_e32 v240, 0xffffffd0, v237
	v_mul_i32_i24_e32 v237, 0xffffffd0, v247
	buffer_store_dword v249, off, s[40:43], 0 offset:32 ; 4-byte Folded Spill
	buffer_store_dword v247, off, s[40:43], 0 offset:24 ; 4-byte Folded Spill
                                        ; implicit-def: $vgpr14_vgpr15
                                        ; implicit-def: $vgpr18_vgpr19
                                        ; implicit-def: $vgpr22_vgpr23
                                        ; implicit-def: $vgpr26_vgpr27
	s_and_saveexec_b32 s1, s0
	s_cbranch_execz .LBB0_15
; %bb.14:
	v_mad_i32_i24 v8, 0xffffffd0, v248, v0
	v_add_nc_u32_e32 v9, 0xa00, v239
	v_add_nc_u32_e32 v12, 0x1400, v239
	;; [unrolled: 1-line block ×3, first 2 shown]
	ds_read_b64 v[222:223], v8
	ds_read2_b64 v[8:11], v9 offset0:20 offset1:195
	ds_read2_b64 v[24:27], v12 offset0:50 offset1:225
	;; [unrolled: 1-line block ×5, first 2 shown]
.LBB0_15:
	s_or_b32 exec_lo, exec_lo, s1
	v_add_f64 v[196:197], v[216:217], v[196:197]
	v_add_f64 v[204:205], v[212:213], v[204:205]
	v_add_f64 v[194:195], v[194:195], -v[214:215]
	v_add_f64 v[202:203], v[202:203], -v[210:211]
	v_add_f64 v[200:201], v[208:209], v[200:201]
	v_add_f64 v[198:199], v[206:207], -v[198:199]
	v_add_f64 v[188:189], v[192:193], v[188:189]
	v_add_f64 v[180:181], v[184:185], v[180:181]
	v_add_f64 v[146:147], v[150:151], -v[146:147]
	v_add_f64 v[172:173], v[176:177], v[172:173]
	v_add_f64 v[164:165], v[168:169], v[164:165]
	v_add_f64 v[156:157], v[160:161], v[156:157]
	v_add_f64 v[140:141], v[144:145], v[140:141]
	v_add_f64 v[132:133], v[136:137], v[132:133]
	v_add_f64 v[124:125], v[128:129], v[124:125]
	v_add_f64 v[122:123], v[126:127], -v[122:123]
	v_add_f64 v[114:115], v[114:115], -v[118:119]
	;; [unrolled: 1-line block ×3, first 2 shown]
	v_add_f64 v[100:101], v[104:105], v[100:101]
	v_add_f64 v[116:117], v[120:121], v[116:117]
	;; [unrolled: 1-line block ×3, first 2 shown]
	v_add_f64 v[186:187], v[186:187], -v[190:191]
	v_add_f64 v[178:179], v[178:179], -v[182:183]
	v_add_f64 v[150:151], v[204:205], v[196:197]
	v_add_f64 v[170:171], v[174:175], -v[170:171]
	v_add_f64 v[126:127], v[202:203], -v[194:195]
	;; [unrolled: 1-line block ×5, first 2 shown]
	v_add_f64 v[128:129], v[180:181], v[188:189]
	v_add_f64 v[162:163], v[162:163], -v[166:167]
	v_add_f64 v[154:155], v[154:155], -v[158:159]
	v_add_f64 v[148:149], v[152:153], v[148:149]
	v_add_f64 v[138:139], v[138:139], -v[142:143]
	v_add_f64 v[130:131], v[130:131], -v[134:135]
	;; [unrolled: 1-line block ×4, first 2 shown]
	v_add_f64 v[112:113], v[198:199], v[202:203]
	v_add_f64 v[120:121], v[194:195], -v[198:199]
	v_add_f64 v[134:135], v[180:181], -v[188:189]
	;; [unrolled: 1-line block ×4, first 2 shown]
	v_add_f64 v[166:167], v[156:157], v[164:165]
	v_add_f64 v[176:177], v[132:133], v[140:141]
	;; [unrolled: 1-line block ×5, first 2 shown]
	v_add_f64 v[152:153], v[170:171], -v[178:179]
	v_mul_f64 v[104:105], v[104:105], s[16:17]
	v_mul_f64 v[180:181], v[110:111], s[6:7]
	;; [unrolled: 1-line block ×3, first 2 shown]
	v_add_f64 v[128:129], v[172:173], v[128:129]
	v_mul_f64 v[172:173], v[126:127], s[22:23]
	v_add_f64 v[160:161], v[178:179], -v[186:187]
	v_add_f64 v[168:169], v[156:157], -v[164:165]
	;; [unrolled: 1-line block ×9, first 2 shown]
	v_add_f64 v[112:113], v[112:113], v[194:195]
	v_mul_f64 v[194:195], v[144:145], s[6:7]
	v_add_f64 v[148:149], v[148:149], v[166:167]
	v_add_f64 v[124:125], v[124:125], v[176:177]
	v_add_f64 v[158:159], v[186:187], -v[170:171]
	v_add_f64 v[92:93], v[92:93], v[136:137]
	v_add_f64 v[170:171], v[146:147], v[154:155]
	v_add_f64 v[154:155], v[154:155], -v[162:163]
	v_fma_f64 v[110:111], v[110:111], s[6:7], v[104:105]
	v_fma_f64 v[104:105], v[102:103], s[28:29], -v[104:105]
	v_fma_f64 v[166:167], v[120:121], s[18:19], v[118:119]
	v_fma_f64 v[118:119], v[126:127], s[22:23], -v[118:119]
	v_add_f64 v[96:97], v[96:97], v[128:129]
	v_fma_f64 v[120:121], v[120:121], s[24:25], -v[172:173]
	v_fma_f64 v[102:103], v[102:103], s[26:27], -v[180:181]
	v_add_f64 v[182:183], v[122:123], v[130:131]
	v_add_f64 v[130:131], v[130:131], -v[138:139]
	v_add_f64 v[190:191], v[108:109], -v[116:117]
	;; [unrolled: 1-line block ×5, first 2 shown]
	v_add_f64 v[100:101], v[100:101], v[188:189]
	v_add_f64 v[192:193], v[98:99], v[106:107]
	v_add_f64 v[106:107], v[106:107], -v[114:115]
	v_add_f64 v[146:147], v[162:163], -v[146:147]
	;; [unrolled: 1-line block ×3, first 2 shown]
	v_mul_f64 v[142:143], v[142:143], s[16:17]
	v_fma_f64 v[126:127], v[136:137], s[8:9], v[92:93]
	v_add_f64 v[136:137], v[150:151], v[186:187]
	v_mul_f64 v[150:151], v[152:153], s[20:21]
	v_mul_f64 v[152:153], v[160:161], s[22:23]
	;; [unrolled: 1-line block ×4, first 2 shown]
	v_fma_f64 v[176:177], v[134:135], s[26:27], -v[194:195]
	v_add_f64 v[88:89], v[88:89], v[148:149]
	v_fma_f64 v[166:167], v[112:113], s[14:15], v[166:167]
	v_fma_f64 v[118:119], v[112:113], s[14:15], v[118:119]
	;; [unrolled: 1-line block ×4, first 2 shown]
	v_mul_f64 v[120:121], v[140:141], s[16:17]
	v_mul_f64 v[140:141], v[184:185], s[20:21]
	v_add_f64 v[188:189], v[84:85], v[124:125]
	v_add_f64 v[162:163], v[170:171], v[162:163]
	v_mul_f64 v[170:171], v[156:157], s[6:7]
	v_mul_f64 v[174:175], v[154:155], s[22:23]
	;; [unrolled: 1-line block ×3, first 2 shown]
	v_add_f64 v[98:99], v[114:115], -v[98:99]
	v_mul_f64 v[116:117], v[116:117], s[16:17]
	v_mul_f64 v[184:185], v[108:109], s[6:7]
	v_add_f64 v[110:111], v[110:111], v[126:127]
	v_add_f64 v[104:105], v[104:105], v[126:127]
	;; [unrolled: 1-line block ×3, first 2 shown]
	v_mul_f64 v[126:127], v[132:133], s[6:7]
	v_mul_f64 v[186:187], v[196:197], s[20:21]
	v_add_f64 v[2:3], v[2:3], v[100:101]
	v_mul_f64 v[84:85], v[106:107], s[22:23]
	v_fma_f64 v[144:145], v[144:145], s[6:7], v[142:143]
	v_fma_f64 v[134:135], v[134:135], s[28:29], -v[142:143]
	v_fma_f64 v[142:143], v[158:159], s[18:19], v[150:151]
	v_fma_f64 v[150:151], v[160:161], s[22:23], -v[150:151]
	v_fma_f64 v[152:153], v[158:159], s[24:25], -v[152:153]
	v_fma_f64 v[156:157], v[156:157], s[6:7], v[164:165]
	v_fma_f64 v[148:149], v[148:149], s[8:9], v[88:89]
	v_add_f64 v[160:161], v[176:177], v[128:129]
	v_add_f64 v[138:139], v[182:183], v[138:139]
	v_fma_f64 v[124:125], v[124:125], s[8:9], v[188:189]
	v_fma_f64 v[132:133], v[132:133], s[6:7], v[120:121]
	v_fma_f64 v[120:121], v[178:179], s[28:29], -v[120:121]
	v_fma_f64 v[158:159], v[168:169], s[26:27], -v[170:171]
	;; [unrolled: 1-line block ×4, first 2 shown]
	v_add_f64 v[114:115], v[192:193], v[114:115]
	v_add_f64 v[176:177], v[104:105], -v[112:113]
	v_add_f64 v[194:195], v[118:119], v[102:103]
	v_add_f64 v[102:103], v[102:103], -v[118:119]
	v_add_f64 v[104:105], v[112:113], v[104:105]
	v_fma_f64 v[112:113], v[168:169], s[28:29], -v[164:165]
	v_fma_f64 v[118:119], v[146:147], s[18:19], v[172:173]
	v_fma_f64 v[126:127], v[178:179], s[26:27], -v[126:127]
	v_fma_f64 v[164:165], v[122:123], s[18:19], v[140:141]
	v_fma_f64 v[146:147], v[146:147], s[24:25], -v[174:175]
	v_fma_f64 v[122:123], v[122:123], s[24:25], -v[180:181]
	v_fma_f64 v[100:101], v[100:101], s[8:9], v[2:3]
	v_fma_f64 v[108:109], v[108:109], s[6:7], v[116:117]
	v_fma_f64 v[140:141], v[190:191], s[26:27], -v[184:185]
	v_fma_f64 v[116:117], v[190:191], s[28:29], -v[116:117]
	v_fma_f64 v[168:169], v[98:99], s[18:19], v[186:187]
	v_fma_f64 v[84:85], v[98:99], s[24:25], -v[84:85]
	v_fma_f64 v[98:99], v[106:107], s[22:23], -v[186:187]
	v_add_f64 v[144:145], v[144:145], v[128:129]
	v_add_f64 v[106:107], v[134:135], v[128:129]
	v_fma_f64 v[128:129], v[136:137], s[14:15], v[142:143]
	v_fma_f64 v[134:135], v[136:137], s[14:15], v[152:153]
	v_add_f64 v[142:143], v[156:157], v[148:149]
	v_add_f64 v[132:133], v[132:133], v[124:125]
	;; [unrolled: 1-line block ×3, first 2 shown]
	v_fma_f64 v[136:137], v[136:137], s[14:15], v[150:151]
	v_add_f64 v[150:151], v[158:159], v[148:149]
	v_add_f64 v[112:113], v[112:113], v[148:149]
	v_fma_f64 v[118:119], v[162:163], s[14:15], v[118:119]
	v_add_f64 v[126:127], v[126:127], v[124:125]
	v_fma_f64 v[124:125], v[138:139], s[14:15], v[164:165]
	v_fma_f64 v[146:147], v[162:163], s[14:15], v[146:147]
	;; [unrolled: 1-line block ×5, first 2 shown]
	v_add_f64 v[108:109], v[108:109], v[100:101]
	v_add_f64 v[138:139], v[140:141], v[100:101]
	v_add_f64 v[100:101], v[116:117], v[100:101]
	v_fma_f64 v[116:117], v[114:115], s[14:15], v[168:169]
	v_fma_f64 v[84:85], v[114:115], s[14:15], v[84:85]
	v_fma_f64 v[98:99], v[114:115], s[14:15], v[98:99]
	v_add_f64 v[170:171], v[110:111], -v[166:167]
	v_add_f64 v[114:115], v[144:145], -v[128:129]
	;; [unrolled: 1-line block ×3, first 2 shown]
	v_add_f64 v[106:107], v[134:135], v[106:107]
	v_add_f64 v[128:129], v[128:129], v[144:145]
	v_add_f64 v[110:111], v[166:167], v[110:111]
	v_add_f64 v[152:153], v[136:137], v[160:161]
	v_add_f64 v[136:137], v[160:161], -v[136:137]
	v_add_nc_u32_e32 v1, 0, v1
	v_add_f64 v[134:135], v[142:143], -v[118:119]
	v_add_f64 v[118:119], v[118:119], v[142:143]
	v_add_f64 v[142:143], v[132:133], -v[124:125]
	v_add_f64 v[144:145], v[112:113], -v[146:147]
	v_add_f64 v[154:155], v[148:149], v[150:151]
	v_add_f64 v[148:149], v[150:151], -v[148:149]
	v_add_f64 v[112:113], v[146:147], v[112:113]
	;; [unrolled: 2-line block ×4, first 2 shown]
	v_add_f64 v[122:123], v[124:125], v[132:133]
	v_add_f64 v[124:125], v[108:109], -v[116:117]
	v_add_f64 v[130:131], v[100:101], -v[84:85]
	v_add_f64 v[132:133], v[98:99], v[138:139]
	v_add_f64 v[98:99], v[138:139], -v[98:99]
	v_add_f64 v[164:165], v[84:85], v[100:101]
	v_add_f64 v[84:85], v[116:117], v[108:109]
	s_waitcnt lgkmcnt(0)
	s_waitcnt_vscnt null, 0x0
	s_barrier
	buffer_gl0_inv
	ds_write2_b64 v228, v[92:93], v[170:171] offset1:1
	ds_write2_b64 v228, v[176:177], v[194:195] offset0:2 offset1:3
	ds_write2_b64 v228, v[102:103], v[104:105] offset0:4 offset1:5
	ds_write_b64 v228, v[110:111] offset:48
	ds_write2_b64 v86, v[96:97], v[114:115] offset1:1
	ds_write2_b64 v86, v[140:141], v[152:153] offset0:2 offset1:3
	ds_write2_b64 v86, v[136:137], v[106:107] offset0:4 offset1:5
	ds_write_b64 v86, v[128:129] offset:48
	;; [unrolled: 4-line block ×5, first 2 shown]
	s_waitcnt lgkmcnt(0)
	s_barrier
	buffer_gl0_inv
	ds_read2_b64 v[0:3], v239 offset1:175
	ds_read2_b64 v[156:159], v231 offset0:94 offset1:149
	ds_read2_b64 v[128:131], v232 offset0:76 offset1:141
	;; [unrolled: 1-line block ×9, first 2 shown]
	v_add_nc_u32_e32 v86, v86, v240
	v_add_nc_u32_e32 v87, v87, v237
	ds_read2_b64 v[136:139], v233 offset0:102 offset1:157
	ds_read2_b64 v[132:135], v90 offset0:68 offset1:123
	;; [unrolled: 1-line block ×3, first 2 shown]
	ds_read2_b64 v[116:119], v94 offset1:55
	ds_read2_b64 v[108:111], v95 offset0:94 offset1:149
                                        ; implicit-def: $vgpr90_vgpr91
                                        ; implicit-def: $vgpr94_vgpr95
                                        ; implicit-def: $vgpr98_vgpr99
                                        ; implicit-def: $vgpr106_vgpr107
	buffer_store_dword v86, off, s[40:43], 0 offset:36 ; 4-byte Folded Spill
	buffer_store_dword v87, off, s[40:43], 0 offset:40 ; 4-byte Folded Spill
	ds_read_b64 v[166:167], v87
	ds_read_b64 v[168:169], v86
	ds_read_b64 v[236:237], v239 offset:14880
	v_lshl_add_u32 v86, v248, 3, 0
	buffer_store_dword v248, off, s[40:43], 0 offset:28 ; 4-byte Folded Spill
	buffer_store_dword v86, off, s[40:43], 0 ; 4-byte Folded Spill
	s_and_saveexec_b32 s1, s0
	s_cbranch_execz .LBB0_17
; %bb.16:
	buffer_load_dword v84, off, s[40:43], 0 ; 4-byte Folded Reload
	v_add_nc_u32_e32 v88, 0x1400, v239
	v_add_nc_u32_e32 v89, 0x2000, v239
	;; [unrolled: 1-line block ×4, first 2 shown]
	s_waitcnt vmcnt(0)
	ds_read_b64 v[164:165], v84
	v_add_nc_u32_e32 v84, 0xa00, v239
	ds_read2_b64 v[84:87], v84 offset0:20 offset1:195
	ds_read2_b64 v[104:107], v88 offset0:50 offset1:225
	;; [unrolled: 1-line block ×5, first 2 shown]
.LBB0_17:
	s_or_b32 exec_lo, exec_lo, s1
	v_and_b32_e32 v160, 0xff, v238
	v_mov_b32_e32 v204, 10
	s_mov_b32 s20, 0x8eee2c13
	s_mov_b32 s21, 0xbfed1bb4
	;; [unrolled: 1-line block ×3, first 2 shown]
	v_mul_lo_u16 v160, v160, 37
	s_mov_b32 s7, 0x3fda9628
	s_mov_b32 s18, 0xbb3a28a1
	;; [unrolled: 1-line block ×4, first 2 shown]
	v_lshrrev_b16 v160, 8, v160
	s_mov_b32 s9, 0xbfe4f49e
	s_mov_b32 s22, 0x43842ef
	;; [unrolled: 1-line block ×4, first 2 shown]
	v_sub_nc_u16 v161, v238, v160
	s_mov_b32 s24, 0xfd768dbf
	s_mov_b32 s17, 0xbfc2375f
	;; [unrolled: 1-line block ×4, first 2 shown]
	v_lshrrev_b16 v161, 1, v161
	s_mov_b32 s26, s24
	s_mov_b32 s14, 0x9bcd5057
	;; [unrolled: 1-line block ×4, first 2 shown]
	v_and_b32_e32 v161, 0x7f, v161
	s_mov_b32 s28, s20
	s_mov_b32 s31, 0x3fefac9e
	;; [unrolled: 1-line block ×4, first 2 shown]
	v_add_nc_u16 v160, v161, v160
	s_mov_b32 s37, 0xbfe14ced
	s_mov_b32 s34, 0x8764f0ba
	;; [unrolled: 1-line block ×4, first 2 shown]
	v_lshrrev_b16 v201, 2, v160
	s_mov_b32 s38, s36
	v_mul_lo_u16 v160, v201, 7
	v_sub_nc_u16 v200, v238, v160
	v_mul_u32_u24_sdwa v160, v200, v204 dst_sel:DWORD dst_unused:UNUSED_PAD src0_sel:BYTE_0 src1_sel:DWORD
	v_lshlrev_b32_e32 v176, 4, v160
	s_clause 0x1
	global_load_dwordx4 v[160:163], v176, s[12:13] offset:16
	global_load_dwordx4 v[205:208], v176, s[12:13]
	s_waitcnt vmcnt(1) lgkmcnt(16)
	v_mul_f64 v[170:171], v[156:157], v[162:163]
	v_fma_f64 v[212:213], v[80:81], v[160:161], -v[170:171]
	v_mul_f64 v[80:81], v[80:81], v[162:163]
	v_fma_f64 v[162:163], v[156:157], v[160:161], v[80:81]
	buffer_load_dword v156, off, s[40:43], 0 offset:8 ; 4-byte Folded Reload
	s_waitcnt vmcnt(0)
	v_and_b32_e32 v80, 0xff, v156
	v_mul_lo_u16 v80, v80, 37
	v_lshrrev_b16 v80, 8, v80
	v_sub_nc_u16 v81, v156, v80
	v_lshrrev_b16 v81, 1, v81
	v_and_b32_e32 v81, 0x7f, v81
	v_add_nc_u16 v80, v81, v80
	v_lshrrev_b16 v202, 2, v80
	v_mul_lo_u16 v80, v202, 7
	v_sub_nc_u16 v203, v156, v80
	v_mul_u32_u24_sdwa v80, v203, v204 dst_sel:DWORD dst_unused:UNUSED_PAD src0_sel:BYTE_0 src1_sel:DWORD
	v_lshlrev_b32_e32 v177, 4, v80
	s_clause 0x1
	global_load_dwordx4 v[170:173], v177, s[12:13] offset:16
	global_load_dwordx4 v[188:191], v177, s[12:13]
	s_waitcnt vmcnt(1)
	v_mul_f64 v[80:81], v[158:159], v[172:173]
	v_fma_f64 v[160:161], v[82:83], v[170:171], -v[80:81]
	v_mul_f64 v[80:81], v[82:83], v[172:173]
	v_fma_f64 v[156:157], v[158:159], v[170:171], v[80:81]
	s_clause 0x1
	global_load_dwordx4 v[80:83], v176, s[12:13] offset:48
	global_load_dwordx4 v[192:195], v176, s[12:13] offset:32
	s_waitcnt vmcnt(1) lgkmcnt(14)
	v_mul_f64 v[158:159], v[152:153], v[82:83]
	v_fma_f64 v[214:215], v[76:77], v[80:81], -v[158:159]
	v_mul_f64 v[76:77], v[76:77], v[82:83]
	v_fma_f64 v[174:175], v[152:153], v[80:81], v[76:77]
	s_clause 0x1
	global_load_dwordx4 v[80:83], v177, s[12:13] offset:48
	global_load_dwordx4 v[240:243], v177, s[12:13] offset:32
	s_waitcnt vmcnt(1)
	v_mul_f64 v[76:77], v[154:155], v[82:83]
	v_fma_f64 v[158:159], v[78:79], v[80:81], -v[76:77]
	v_mul_f64 v[76:77], v[78:79], v[82:83]
	v_fma_f64 v[152:153], v[154:155], v[80:81], v[76:77]
	s_clause 0x1
	global_load_dwordx4 v[76:79], v176, s[12:13] offset:80
	global_load_dwordx4 v[80:83], v176, s[12:13] offset:64
	s_waitcnt vmcnt(1) lgkmcnt(12)
	v_mul_f64 v[154:155], v[148:149], v[78:79]
	v_fma_f64 v[216:217], v[72:73], v[76:77], -v[154:155]
	v_mul_f64 v[72:73], v[72:73], v[78:79]
	v_fma_f64 v[178:179], v[148:149], v[76:77], v[72:73]
	s_clause 0x1
	global_load_dwordx4 v[76:79], v177, s[12:13] offset:80
	global_load_dwordx4 v[244:247], v177, s[12:13] offset:64
	;; [unrolled: 16-line block ×4, first 2 shown]
	s_waitcnt vmcnt(1)
	v_mul_f64 v[64:65], v[142:143], v[70:71]
	v_fma_f64 v[180:181], v[66:67], v[68:69], -v[64:65]
	v_mul_f64 v[64:65], v[66:67], v[70:71]
	v_fma_f64 v[154:155], v[142:143], v[68:69], v[64:65]
	s_waitcnt lgkmcnt(7)
	v_mul_f64 v[64:65], v[136:137], v[190:191]
	v_fma_f64 v[184:185], v[60:61], v[188:189], -v[64:65]
	buffer_load_dword v64, off, s[40:43], 0 offset:24 ; 4-byte Folded Reload
	v_mul_f64 v[60:61], v[60:61], v[190:191]
	v_fma_f64 v[176:177], v[136:137], v[188:189], v[60:61]
	s_waitcnt vmcnt(0)
	v_and_b32_e32 v60, 0xff, v64
	buffer_store_dword v60, off, s[40:43], 0 offset:44 ; 4-byte Folded Spill
	v_mul_lo_u16 v60, v60, 37
	v_lshrrev_b16 v60, 8, v60
	v_sub_nc_u16 v61, v64, v60
	v_lshrrev_b16 v61, 1, v61
	v_and_b32_e32 v61, 0x7f, v61
	v_add_nc_u16 v60, v61, v60
	v_lshrrev_b16 v60, 2, v60
	v_mul_lo_u16 v61, v60, 7
	v_sub_nc_u16 v61, v64, v61
	v_mul_u32_u24_sdwa v64, v61, v204 dst_sel:DWORD dst_unused:UNUSED_PAD src0_sel:BYTE_0 src1_sel:DWORD
	v_lshlrev_b32_e32 v140, 4, v64
	s_clause 0x1
	global_load_dwordx4 v[64:67], v140, s[12:13]
	global_load_dwordx4 v[68:71], v140, s[12:13] offset:16
	s_waitcnt vmcnt(1)
	v_mul_f64 v[76:77], v[138:139], v[66:67]
	v_fma_f64 v[209:210], v[62:63], v[64:65], -v[76:77]
	v_mul_f64 v[62:63], v[62:63], v[66:67]
	v_fma_f64 v[138:139], v[138:139], v[64:65], v[62:63]
	v_mul_f64 v[62:63], v[130:131], v[194:195]
	v_fma_f64 v[230:231], v[58:59], v[192:193], -v[62:63]
	v_mul_f64 v[58:59], v[58:59], v[194:195]
	v_fma_f64 v[196:197], v[130:131], v[192:193], v[58:59]
	s_waitcnt vmcnt(0)
	v_mul_f64 v[58:59], v[128:129], v[70:71]
	v_fma_f64 v[141:142], v[56:57], v[68:69], -v[58:59]
	v_mul_f64 v[56:57], v[56:57], v[70:71]
	v_fma_f64 v[130:131], v[128:129], v[68:69], v[56:57]
	s_waitcnt lgkmcnt(6)
	v_mul_f64 v[56:57], v[132:133], v[242:243]
	v_fma_f64 v[192:193], v[52:53], v[240:241], -v[56:57]
	s_clause 0x1
	global_load_dwordx4 v[56:59], v140, s[12:13] offset:32
	global_load_dwordx4 v[62:65], v140, s[12:13] offset:48
	v_mul_f64 v[52:53], v[52:53], v[242:243]
	v_fma_f64 v[188:189], v[132:133], v[240:241], v[52:53]
	s_waitcnt vmcnt(1)
	v_mul_f64 v[52:53], v[134:135], v[58:59]
	v_fma_f64 v[132:133], v[54:55], v[56:57], -v[52:53]
	v_mul_f64 v[52:53], v[54:55], v[58:59]
	v_fma_f64 v[128:129], v[134:135], v[56:57], v[52:53]
	v_mul_f64 v[52:53], v[122:123], v[82:83]
	v_fma_f64 v[52:53], v[50:51], v[80:81], -v[52:53]
	v_mul_f64 v[50:51], v[50:51], v[82:83]
	v_fma_f64 v[78:79], v[122:123], v[80:81], v[50:51]
	s_waitcnt vmcnt(0)
	v_mul_f64 v[50:51], v[120:121], v[64:65]
	v_fma_f64 v[134:135], v[48:49], v[62:63], -v[50:51]
	v_mul_f64 v[48:49], v[48:49], v[64:65]
	v_fma_f64 v[240:241], v[120:121], v[62:63], v[48:49]
	s_waitcnt lgkmcnt(5)
	v_mul_f64 v[48:49], v[124:125], v[246:247]
	v_fma_f64 v[194:195], v[44:45], v[244:245], -v[48:49]
	s_clause 0x1
	global_load_dwordx4 v[48:51], v140, s[12:13] offset:64
	global_load_dwordx4 v[54:57], v140, s[12:13] offset:80
	v_mul_f64 v[44:45], v[44:45], v[246:247]
	v_fma_f64 v[190:191], v[124:125], v[244:245], v[44:45]
	s_waitcnt vmcnt(1)
	v_mul_f64 v[44:45], v[126:127], v[50:51]
	v_fma_f64 v[124:125], v[46:47], v[48:49], -v[44:45]
	v_mul_f64 v[44:45], v[46:47], v[50:51]
	v_fma_f64 v[122:123], v[126:127], v[48:49], v[44:45]
	v_mul_f64 v[44:45], v[114:115], v[250:251]
	v_fma_f64 v[44:45], v[42:43], v[248:249], -v[44:45]
	v_mul_f64 v[42:43], v[42:43], v[250:251]
	v_fma_f64 v[80:81], v[114:115], v[248:249], v[42:43]
	s_waitcnt vmcnt(0)
	v_mul_f64 v[42:43], v[112:113], v[56:57]
	v_fma_f64 v[114:115], v[40:41], v[54:55], -v[42:43]
	v_mul_f64 v[40:41], v[40:41], v[56:57]
	v_fma_f64 v[112:113], v[112:113], v[54:55], v[40:41]
	s_waitcnt lgkmcnt(4)
	v_mul_f64 v[40:41], v[116:117], v[254:255]
	v_fma_f64 v[76:77], v[36:37], v[252:253], -v[40:41]
	s_clause 0x1
	global_load_dwordx4 v[40:43], v140, s[12:13] offset:96
	global_load_dwordx4 v[46:49], v140, s[12:13] offset:112
	v_mul_f64 v[36:37], v[36:37], v[254:255]
	v_fma_f64 v[198:199], v[116:117], v[252:253], v[36:37]
	s_waitcnt vmcnt(1)
	v_mul_f64 v[36:37], v[118:119], v[42:43]
	v_fma_f64 v[120:121], v[38:39], v[40:41], -v[36:37]
	v_mul_f64 v[36:37], v[38:39], v[42:43]
	v_fma_f64 v[116:117], v[118:119], v[40:41], v[36:37]
	v_mul_f64 v[36:37], v[102:103], v[74:75]
	v_fma_f64 v[36:37], v[34:35], v[72:73], -v[36:37]
	v_mul_f64 v[34:35], v[34:35], v[74:75]
	v_fma_f64 v[102:103], v[102:103], v[72:73], v[34:35]
	s_waitcnt vmcnt(0)
	v_mul_f64 v[34:35], v[100:101], v[48:49]
	v_fma_f64 v[136:137], v[32:33], v[46:47], -v[34:35]
	v_mul_f64 v[32:33], v[32:33], v[48:49]
	v_fma_f64 v[118:119], v[100:101], v[46:47], v[32:33]
	s_waitcnt lgkmcnt(3)
	v_mul_f64 v[32:33], v[108:109], v[146:147]
	v_fma_f64 v[82:83], v[28:29], v[144:145], -v[32:33]
	s_clause 0x1
	global_load_dwordx4 v[32:35], v140, s[12:13] offset:128
	global_load_dwordx4 v[38:41], v140, s[12:13] offset:144
	v_mul_f64 v[28:29], v[28:29], v[146:147]
	v_fma_f64 v[74:75], v[108:109], v[144:145], v[28:29]
	s_waitcnt vmcnt(1)
	v_mul_f64 v[28:29], v[110:111], v[34:35]
	v_fma_f64 v[146:147], v[30:31], v[32:33], -v[28:29]
	v_mul_f64 v[28:29], v[30:31], v[34:35]
	buffer_load_dword v30, off, s[40:43], 0 offset:28 ; 4-byte Folded Reload
	v_fma_f64 v[126:127], v[110:111], v[32:33], v[28:29]
	s_waitcnt vmcnt(0)
	v_and_b32_e32 v28, 0xff, v30
	buffer_store_dword v28, off, s[40:43], 0 offset:52 ; 4-byte Folded Spill
	v_mul_lo_u16 v28, v28, 37
	v_lshrrev_b16 v28, 8, v28
	v_sub_nc_u16 v29, v30, v28
	v_lshrrev_b16 v29, 1, v29
	v_and_b32_e32 v29, 0x7f, v29
	v_add_nc_u16 v28, v29, v28
	v_lshrrev_b16 v72, 2, v28
	v_mul_lo_u16 v28, v72, 7
	v_sub_nc_u16 v73, v30, v28
	v_mul_u32_u24_sdwa v28, v73, v204 dst_sel:DWORD dst_unused:UNUSED_PAD src0_sel:BYTE_0 src1_sel:DWORD
	v_lshlrev_b32_e32 v46, 4, v28
	s_clause 0x1
	global_load_dwordx4 v[28:31], v46, s[12:13]
	global_load_dwordx4 v[32:35], v46, s[12:13] offset:16
	s_waitcnt vmcnt(1)
	v_mul_f64 v[42:43], v[84:85], v[30:31]
	v_fma_f64 v[42:43], v[8:9], v[28:29], -v[42:43]
	v_mul_f64 v[8:9], v[8:9], v[30:31]
	buffer_store_dword v42, off, s[40:43], 0 offset:196 ; 4-byte Folded Spill
	buffer_store_dword v43, off, s[40:43], 0 offset:200 ; 4-byte Folded Spill
	v_fma_f64 v[8:9], v[84:85], v[28:29], v[8:9]
	buffer_store_dword v8, off, s[40:43], 0 offset:204 ; 4-byte Folded Spill
	buffer_store_dword v9, off, s[40:43], 0 offset:208 ; 4-byte Folded Spill
	s_waitcnt vmcnt(0)
	v_mul_f64 v[8:9], v[86:87], v[34:35]
	v_fma_f64 v[8:9], v[10:11], v[32:33], -v[8:9]
	buffer_store_dword v8, off, s[40:43], 0 offset:172 ; 4-byte Folded Spill
	buffer_store_dword v9, off, s[40:43], 0 offset:176 ; 4-byte Folded Spill
	v_mul_f64 v[8:9], v[10:11], v[34:35]
	v_fma_f64 v[8:9], v[86:87], v[32:33], v[8:9]
	buffer_store_dword v8, off, s[40:43], 0 offset:180 ; 4-byte Folded Spill
	buffer_store_dword v9, off, s[40:43], 0 offset:184 ; 4-byte Folded Spill
	s_clause 0x1
	global_load_dwordx4 v[8:11], v46, s[12:13] offset:32
	global_load_dwordx4 v[28:31], v46, s[12:13] offset:48
	s_waitcnt vmcnt(1)
	v_mul_f64 v[32:33], v[104:105], v[10:11]
	v_mul_f64 v[10:11], v[24:25], v[10:11]
	v_fma_f64 v[32:33], v[24:25], v[8:9], -v[32:33]
	v_fma_f64 v[8:9], v[104:105], v[8:9], v[10:11]
	buffer_store_dword v32, off, s[40:43], 0 offset:156 ; 4-byte Folded Spill
	buffer_store_dword v33, off, s[40:43], 0 offset:160 ; 4-byte Folded Spill
	buffer_store_dword v8, off, s[40:43], 0 offset:148 ; 4-byte Folded Spill
	buffer_store_dword v9, off, s[40:43], 0 offset:152 ; 4-byte Folded Spill
	s_waitcnt vmcnt(0)
	v_mul_f64 v[8:9], v[106:107], v[30:31]
	v_fma_f64 v[8:9], v[26:27], v[28:29], -v[8:9]
	buffer_store_dword v8, off, s[40:43], 0 offset:132 ; 4-byte Folded Spill
	buffer_store_dword v9, off, s[40:43], 0 offset:136 ; 4-byte Folded Spill
	v_mul_f64 v[8:9], v[26:27], v[30:31]
	v_fma_f64 v[8:9], v[106:107], v[28:29], v[8:9]
	buffer_store_dword v8, off, s[40:43], 0 offset:108 ; 4-byte Folded Spill
	buffer_store_dword v9, off, s[40:43], 0 offset:112 ; 4-byte Folded Spill
	s_clause 0x1
	global_load_dwordx4 v[8:11], v46, s[12:13] offset:64
	global_load_dwordx4 v[24:27], v46, s[12:13] offset:80
	s_waitcnt vmcnt(1) lgkmcnt(2)
	v_mul_f64 v[28:29], v[96:97], v[10:11]
	v_mul_f64 v[10:11], v[20:21], v[10:11]
	v_fma_f64 v[28:29], v[20:21], v[8:9], -v[28:29]
	v_fma_f64 v[8:9], v[96:97], v[8:9], v[10:11]
	buffer_store_dword v28, off, s[40:43], 0 offset:116 ; 4-byte Folded Spill
	buffer_store_dword v29, off, s[40:43], 0 offset:120 ; 4-byte Folded Spill
	buffer_store_dword v8, off, s[40:43], 0 offset:100 ; 4-byte Folded Spill
	buffer_store_dword v9, off, s[40:43], 0 offset:104 ; 4-byte Folded Spill
	s_waitcnt vmcnt(0)
	v_mul_f64 v[8:9], v[98:99], v[26:27]
	v_fma_f64 v[8:9], v[22:23], v[24:25], -v[8:9]
	buffer_store_dword v8, off, s[40:43], 0 offset:124 ; 4-byte Folded Spill
	buffer_store_dword v9, off, s[40:43], 0 offset:128 ; 4-byte Folded Spill
	v_mul_f64 v[8:9], v[22:23], v[26:27]
	v_fma_f64 v[8:9], v[98:99], v[24:25], v[8:9]
	buffer_store_dword v8, off, s[40:43], 0 offset:92 ; 4-byte Folded Spill
	buffer_store_dword v9, off, s[40:43], 0 offset:96 ; 4-byte Folded Spill
	s_clause 0x1
	global_load_dwordx4 v[8:11], v46, s[12:13] offset:96
	global_load_dwordx4 v[20:23], v46, s[12:13] offset:112
	s_waitcnt vmcnt(1) lgkmcnt(1)
	;; [unrolled: 21-line block ×3, first 2 shown]
	v_mul_f64 v[20:21], v[88:89], v[10:11]
	v_mul_f64 v[10:11], v[12:13], v[10:11]
	v_fma_f64 v[20:21], v[12:13], v[8:9], -v[20:21]
	v_fma_f64 v[8:9], v[88:89], v[8:9], v[10:11]
	buffer_store_dword v20, off, s[40:43], 0 offset:188 ; 4-byte Folded Spill
	buffer_store_dword v21, off, s[40:43], 0 offset:192 ; 4-byte Folded Spill
	;; [unrolled: 1-line block ×4, first 2 shown]
	s_waitcnt vmcnt(0)
	v_mul_f64 v[8:9], v[90:91], v[18:19]
	v_fma_f64 v[8:9], v[14:15], v[16:17], -v[8:9]
	buffer_store_dword v8, off, s[40:43], 0 offset:212 ; 4-byte Folded Spill
	buffer_store_dword v9, off, s[40:43], 0 offset:216 ; 4-byte Folded Spill
	v_mul_f64 v[8:9], v[14:15], v[18:19]
	v_fma_f64 v[8:9], v[90:91], v[16:17], v[8:9]
	buffer_store_dword v8, off, s[40:43], 0 offset:60 ; 4-byte Folded Spill
	buffer_store_dword v9, off, s[40:43], 0 offset:64 ; 4-byte Folded Spill
	v_mul_f64 v[8:9], v[236:237], v[40:41]
	v_add_f64 v[16:17], v[162:163], -v[102:103]
	s_waitcnt_vscnt null, 0x0
	s_barrier
	buffer_gl0_inv
	v_fma_f64 v[94:95], v[234:235], v[38:39], -v[8:9]
	v_mul_f64 v[8:9], v[234:235], v[40:41]
	v_mul_f64 v[18:19], v[16:17], s[18:19]
	;; [unrolled: 1-line block ×4, first 2 shown]
	v_fma_f64 v[90:91], v[236:237], v[38:39], v[8:9]
	v_mul_f64 v[8:9], v[6:7], v[207:208]
	v_fma_f64 v[8:9], v[2:3], v[205:206], v[8:9]
	v_mul_f64 v[2:3], v[2:3], v[207:208]
	v_add_f64 v[10:11], v[8:9], -v[186:187]
	v_fma_f64 v[2:3], v[6:7], v[205:206], -v[2:3]
	v_mul_f64 v[14:15], v[10:11], s[20:21]
	v_add_f64 v[6:7], v[2:3], v[232:233]
	v_fma_f64 v[12:13], v[6:7], s[6:7], -v[14:15]
	v_fma_f64 v[14:15], v[6:7], s[6:7], v[14:15]
	v_add_f64 v[20:21], v[4:5], v[12:13]
	v_add_f64 v[12:13], v[212:213], v[36:37]
	v_add_f64 v[14:15], v[4:5], v[14:15]
	v_fma_f64 v[22:23], v[12:13], s[8:9], -v[18:19]
	v_fma_f64 v[26:27], v[12:13], s[14:15], -v[24:25]
	;; [unrolled: 1-line block ×3, first 2 shown]
	v_fma_f64 v[18:19], v[12:13], s[8:9], v[18:19]
	v_add_f64 v[30:31], v[22:23], v[20:21]
	v_mul_f64 v[22:23], v[10:11], s[22:23]
	v_add_f64 v[14:15], v[18:19], v[14:15]
	v_fma_f64 v[20:21], v[6:7], s[16:17], -v[22:23]
	v_fma_f64 v[18:19], v[6:7], s[16:17], v[22:23]
	v_fma_f64 v[22:23], v[12:13], s[14:15], v[24:25]
	v_add_f64 v[20:21], v[4:5], v[20:21]
	v_add_f64 v[18:19], v[4:5], v[18:19]
	;; [unrolled: 1-line block ×3, first 2 shown]
	v_add_f64 v[26:27], v[196:197], -v[182:183]
	v_add_f64 v[20:21], v[230:231], v[228:229]
	v_add_f64 v[18:19], v[22:23], v[18:19]
	v_mul_f64 v[28:29], v[26:27], s[26:27]
	v_fma_f64 v[34:35], v[20:21], s[14:15], -v[28:29]
	v_fma_f64 v[22:23], v[20:21], s[14:15], v[28:29]
	v_add_f64 v[40:41], v[34:35], v[30:31]
	v_mul_f64 v[30:31], v[26:27], s[28:29]
	v_add_f64 v[14:15], v[22:23], v[14:15]
	v_fma_f64 v[34:35], v[20:21], s[6:7], -v[30:31]
	v_fma_f64 v[22:23], v[20:21], s[6:7], v[30:31]
	v_add_f64 v[42:43], v[34:35], v[32:33]
	v_add_f64 v[34:35], v[174:175], -v[80:81]
	v_add_f64 v[32:33], v[214:215], v[44:45]
	v_add_f64 v[18:19], v[22:23], v[18:19]
	v_mul_f64 v[38:39], v[34:35], s[30:31]
	v_fma_f64 v[46:47], v[32:33], s[16:17], -v[38:39]
	v_fma_f64 v[22:23], v[32:33], s[16:17], v[38:39]
	v_add_f64 v[50:51], v[46:47], v[40:41]
	v_mul_f64 v[40:41], v[34:35], s[36:37]
	v_add_f64 v[14:15], v[22:23], v[14:15]
	v_fma_f64 v[46:47], v[32:33], s[34:35], -v[40:41]
	v_fma_f64 v[22:23], v[32:33], s[34:35], v[40:41]
	v_add_f64 v[56:57], v[46:47], v[42:43]
	;; [unrolled: 12-line block ×3, first 2 shown]
	v_mov_b32_e32 v58, 0x268
	v_mov_b32_e32 v59, 3
	v_add_f64 v[18:19], v[22:23], v[18:19]
	v_mul_u32_u24_sdwa v62, v201, v58 dst_sel:DWORD dst_unused:UNUSED_PAD src0_sel:WORD_0 src1_sel:DWORD
	v_lshlrev_b32_sdwa v63, v59, v200 dst_sel:DWORD dst_unused:UNUSED_PAD src0_sel:DWORD src1_sel:BYTE_0
	v_add3_u32 v86, 0, v62, v63
	v_mul_f64 v[62:63], v[16:17], s[30:31]
	ds_write2_b64 v86, v[54:55], v[56:57] offset0:14 offset1:21
	v_mul_f64 v[54:55], v[10:11], s[18:19]
	ds_write2_b64 v86, v[18:19], v[14:15] offset0:56 offset1:63
	v_fma_f64 v[64:65], v[12:13], s[16:17], -v[62:63]
	v_fma_f64 v[56:57], v[6:7], s[8:9], -v[54:55]
	v_fma_f64 v[54:55], v[6:7], s[8:9], v[54:55]
	v_add_f64 v[56:57], v[4:5], v[56:57]
	v_add_f64 v[54:55], v[4:5], v[54:55]
	v_add_f64 v[56:57], v[64:65], v[56:57]
	v_mul_f64 v[64:65], v[10:11], s[24:25]
	v_mul_f64 v[10:11], v[10:11], s[36:37]
	v_fma_f64 v[66:67], v[6:7], s[14:15], -v[64:65]
	v_fma_f64 v[14:15], v[6:7], s[34:35], -v[10:11]
	v_add_f64 v[66:67], v[4:5], v[66:67]
	v_add_f64 v[66:67], v[70:71], v[66:67]
	v_mul_f64 v[70:71], v[26:27], s[36:37]
	v_fma_f64 v[84:85], v[20:21], s[34:35], -v[70:71]
	v_add_f64 v[56:57], v[84:85], v[56:57]
	v_mul_f64 v[84:85], v[26:27], s[18:19]
	v_fma_f64 v[96:97], v[20:21], s[8:9], -v[84:85]
	;; [unrolled: 3-line block ×6, first 2 shown]
	v_add_f64 v[66:67], v[144:145], v[66:67]
	ds_write2_b64 v86, v[56:57], v[66:67] offset0:28 offset1:35
	v_fma_f64 v[56:57], v[12:13], s[16:17], v[62:63]
	v_fma_f64 v[62:63], v[12:13], s[34:35], v[68:69]
	v_add_f64 v[54:55], v[56:57], v[54:55]
	v_fma_f64 v[56:57], v[6:7], s[14:15], v[64:65]
	v_fma_f64 v[6:7], v[6:7], s[34:35], v[10:11]
	v_add_f64 v[10:11], v[4:5], v[14:15]
	v_mul_f64 v[14:15], v[16:17], s[20:21]
	v_add_f64 v[56:57], v[4:5], v[56:57]
	v_add_f64 v[6:7], v[4:5], v[6:7]
	;; [unrolled: 1-line block ×3, first 2 shown]
	v_fma_f64 v[16:17], v[12:13], s[6:7], -v[14:15]
	v_add_f64 v[56:57], v[62:63], v[56:57]
	v_fma_f64 v[62:63], v[20:21], s[34:35], v[70:71]
	v_add_f64 v[4:5], v[4:5], v[212:213]
	v_add_f64 v[10:11], v[16:17], v[10:11]
	v_mul_f64 v[16:17], v[26:27], s[22:23]
	v_add_f64 v[54:55], v[62:63], v[54:55]
	v_add_f64 v[4:5], v[4:5], v[230:231]
	v_fma_f64 v[62:63], v[20:21], s[8:9], v[84:85]
	v_fma_f64 v[18:19], v[20:21], s[16:17], -v[16:17]
	v_add_f64 v[4:5], v[4:5], v[214:215]
	v_add_f64 v[56:57], v[62:63], v[56:57]
	;; [unrolled: 1-line block ×3, first 2 shown]
	v_mul_f64 v[18:19], v[34:35], s[18:19]
	v_fma_f64 v[62:63], v[32:33], s[14:15], v[96:97]
	v_add_f64 v[4:5], v[4:5], v[52:53]
	v_fma_f64 v[22:23], v[32:33], s[8:9], -v[18:19]
	v_add_f64 v[54:55], v[62:63], v[54:55]
	v_fma_f64 v[62:63], v[32:33], s[6:7], v[98:99]
	v_add_f64 v[4:5], v[4:5], v[216:217]
	v_add_f64 v[10:11], v[22:23], v[10:11]
	v_mul_f64 v[22:23], v[46:47], s[24:25]
	v_add_f64 v[56:57], v[62:63], v[56:57]
	v_fma_f64 v[62:63], v[42:43], s[6:7], v[104:105]
	v_add_f64 v[4:5], v[4:5], v[44:45]
	v_fma_f64 v[24:25], v[42:43], s[14:15], -v[22:23]
	v_add_f64 v[54:55], v[62:63], v[54:55]
	v_fma_f64 v[62:63], v[42:43], s[16:17], v[106:107]
	v_add_f64 v[4:5], v[4:5], v[228:229]
	v_add_f64 v[10:11], v[24:25], v[10:11]
	;; [unrolled: 1-line block ×5, first 2 shown]
	ds_write2_b64 v86, v[56:57], v[54:55] offset0:42 offset1:49
	v_add_f64 v[4:5], v[4:5], v[232:233]
	ds_write2_b64 v86, v[4:5], v[10:11] offset1:7
	v_fma_f64 v[4:5], v[12:13], s[6:7], v[14:15]
	v_fma_f64 v[10:11], v[20:21], s[16:17], v[16:17]
	;; [unrolled: 1-line block ×4, first 2 shown]
	v_add_f64 v[16:17], v[184:185], v[180:181]
	v_add_f64 v[22:23], v[156:157], -v[74:75]
	v_add_f64 v[4:5], v[4:5], v[6:7]
	v_add_f64 v[6:7], v[176:177], -v[154:155]
	v_mul_f64 v[26:27], v[22:23], s[20:21]
	v_mul_f64 v[50:51], v[22:23], s[26:27]
	v_add_f64 v[4:5], v[10:11], v[4:5]
	v_mul_f64 v[18:19], v[6:7], s[36:37]
	v_add_f64 v[10:11], v[188:189], -v[150:151]
	v_fma_f64 v[28:29], v[24:25], s[6:7], -v[26:27]
	v_fma_f64 v[54:55], v[24:25], s[14:15], -v[50:51]
	v_add_f64 v[4:5], v[12:13], v[4:5]
	v_fma_f64 v[20:21], v[16:17], s[34:35], -v[18:19]
	v_mul_f64 v[30:31], v[10:11], s[22:23]
	v_add_f64 v[12:13], v[152:153], -v[198:199]
	v_add_f64 v[4:5], v[14:15], v[4:5]
	v_add_f64 v[20:21], v[226:227], v[20:21]
	v_add_f64 v[14:15], v[190:191], -v[148:149]
	v_mul_f64 v[34:35], v[12:13], s[18:19]
	ds_write_b64 v86, v[4:5] offset:560
	v_mul_u32_u24_sdwa v4, v202, v58 dst_sel:DWORD dst_unused:UNUSED_PAD src0_sel:WORD_0 src1_sel:DWORD
	v_lshlrev_b32_sdwa v5, v59, v203 dst_sel:DWORD dst_unused:UNUSED_PAD src0_sel:DWORD src1_sel:BYTE_0
	v_add_f64 v[20:21], v[28:29], v[20:21]
	v_add_f64 v[28:29], v[192:193], v[172:173]
	v_mul_f64 v[40:41], v[14:15], s[24:25]
	v_add3_u32 v87, 0, v4, v5
	v_add_f64 v[4:5], v[226:227], v[184:185]
	v_fma_f64 v[32:33], v[28:29], s[16:17], -v[30:31]
	v_add_f64 v[4:5], v[4:5], v[160:161]
	v_add_f64 v[20:21], v[32:33], v[20:21]
	;; [unrolled: 1-line block ×4, first 2 shown]
	v_fma_f64 v[38:39], v[32:33], s[8:9], -v[34:35]
	v_add_f64 v[4:5], v[4:5], v[158:159]
	v_add_f64 v[20:21], v[38:39], v[20:21]
	;; [unrolled: 1-line block ×4, first 2 shown]
	v_fma_f64 v[42:43], v[38:39], s[14:15], -v[40:41]
	v_add_f64 v[4:5], v[4:5], v[170:171]
	v_add_f64 v[20:21], v[42:43], v[20:21]
	v_mul_f64 v[42:43], v[22:23], s[18:19]
	v_add_f64 v[4:5], v[4:5], v[76:77]
	v_fma_f64 v[46:47], v[24:25], s[8:9], -v[42:43]
	v_add_f64 v[4:5], v[4:5], v[172:173]
	v_add_f64 v[4:5], v[4:5], v[82:83]
	;; [unrolled: 1-line block ×3, first 2 shown]
	ds_write2_b64 v87, v[4:5], v[20:21] offset1:7
	v_mul_f64 v[4:5], v[6:7], s[20:21]
	v_fma_f64 v[20:21], v[16:17], s[6:7], -v[4:5]
	v_fma_f64 v[4:5], v[16:17], s[6:7], v[4:5]
	v_add_f64 v[20:21], v[226:227], v[20:21]
	v_add_f64 v[4:5], v[226:227], v[4:5]
	;; [unrolled: 1-line block ×3, first 2 shown]
	v_mul_f64 v[46:47], v[6:7], s[22:23]
	v_fma_f64 v[48:49], v[16:17], s[16:17], -v[46:47]
	v_add_f64 v[48:49], v[226:227], v[48:49]
	v_add_f64 v[48:49], v[54:55], v[48:49]
	v_mul_f64 v[54:55], v[10:11], s[26:27]
	v_fma_f64 v[56:57], v[28:29], s[14:15], -v[54:55]
	v_add_f64 v[20:21], v[56:57], v[20:21]
	v_mul_f64 v[56:57], v[10:11], s[28:29]
	v_fma_f64 v[62:63], v[28:29], s[6:7], -v[56:57]
	;; [unrolled: 3-line block ×6, first 2 shown]
	v_add_f64 v[48:49], v[70:71], v[48:49]
	v_mul_f64 v[70:71], v[22:23], s[30:31]
	v_mul_f64 v[22:23], v[22:23], s[38:39]
	ds_write2_b64 v87, v[20:21], v[48:49] offset0:14 offset1:21
	v_mul_f64 v[20:21], v[6:7], s[18:19]
	v_fma_f64 v[84:85], v[24:25], s[16:17], -v[70:71]
	v_mul_f64 v[6:7], v[6:7], s[24:25]
	v_fma_f64 v[96:97], v[24:25], s[34:35], -v[22:23]
	v_fma_f64 v[22:23], v[24:25], s[34:35], v[22:23]
	v_fma_f64 v[48:49], v[16:17], s[8:9], -v[20:21]
	v_fma_f64 v[20:21], v[16:17], s[8:9], v[20:21]
	v_add_f64 v[48:49], v[226:227], v[48:49]
	v_add_f64 v[20:21], v[226:227], v[20:21]
	;; [unrolled: 1-line block ×3, first 2 shown]
	v_fma_f64 v[84:85], v[16:17], s[14:15], -v[6:7]
	v_fma_f64 v[6:7], v[16:17], s[14:15], v[6:7]
	v_add_f64 v[84:85], v[226:227], v[84:85]
	v_add_f64 v[6:7], v[226:227], v[6:7]
	v_add_f64 v[84:85], v[96:97], v[84:85]
	v_mul_f64 v[96:97], v[10:11], s[36:37]
	v_mul_f64 v[10:11], v[10:11], s[18:19]
	v_add_f64 v[6:7], v[22:23], v[6:7]
	v_fma_f64 v[98:99], v[28:29], s[34:35], -v[96:97]
	v_fma_f64 v[22:23], v[28:29], s[34:35], v[96:97]
	v_add_f64 v[48:49], v[98:99], v[48:49]
	v_fma_f64 v[98:99], v[28:29], s[8:9], -v[10:11]
	v_fma_f64 v[10:11], v[28:29], s[8:9], v[10:11]
	v_add_f64 v[84:85], v[98:99], v[84:85]
	v_mul_f64 v[98:99], v[12:13], s[24:25]
	v_mul_f64 v[12:13], v[12:13], s[28:29]
	v_add_f64 v[6:7], v[10:11], v[6:7]
	v_fma_f64 v[104:105], v[32:33], s[14:15], -v[98:99]
	v_fma_f64 v[10:11], v[32:33], s[14:15], v[98:99]
	v_add_f64 v[48:49], v[104:105], v[48:49]
	v_fma_f64 v[104:105], v[32:33], s[6:7], -v[12:13]
	v_fma_f64 v[12:13], v[32:33], s[6:7], v[12:13]
	v_add_f64 v[84:85], v[104:105], v[84:85]
	v_mul_f64 v[104:105], v[14:15], s[28:29]
	v_mul_f64 v[14:15], v[14:15], s[22:23]
	v_add_f64 v[6:7], v[12:13], v[6:7]
	v_fma_f64 v[106:107], v[38:39], s[6:7], -v[104:105]
	v_fma_f64 v[12:13], v[38:39], s[6:7], v[104:105]
	v_add_f64 v[48:49], v[106:107], v[48:49]
	v_fma_f64 v[106:107], v[38:39], s[16:17], -v[14:15]
	v_add_f64 v[84:85], v[106:107], v[84:85]
	ds_write2_b64 v87, v[48:49], v[84:85] offset0:28 offset1:35
	v_fma_f64 v[48:49], v[24:25], s[16:17], v[70:71]
	v_add_f64 v[20:21], v[48:49], v[20:21]
	v_add_f64 v[20:21], v[22:23], v[20:21]
	v_add_f64 v[10:11], v[10:11], v[20:21]
	v_add_f64 v[10:11], v[12:13], v[10:11]
	v_fma_f64 v[12:13], v[38:39], s[16:17], v[14:15]
	v_fma_f64 v[14:15], v[38:39], s[14:15], v[40:41]
	v_add_f64 v[6:7], v[12:13], v[6:7]
	v_fma_f64 v[12:13], v[32:33], s[8:9], v[34:35]
	ds_write2_b64 v87, v[6:7], v[10:11] offset0:42 offset1:49
	v_fma_f64 v[6:7], v[24:25], s[8:9], v[42:43]
	v_fma_f64 v[10:11], v[24:25], s[14:15], v[50:51]
	v_add_f64 v[4:5], v[6:7], v[4:5]
	v_fma_f64 v[6:7], v[16:17], s[16:17], v[46:47]
	v_add_f64 v[6:7], v[226:227], v[6:7]
	v_add_f64 v[6:7], v[10:11], v[6:7]
	v_fma_f64 v[10:11], v[28:29], s[14:15], v[54:55]
	v_add_f64 v[4:5], v[10:11], v[4:5]
	v_fma_f64 v[10:11], v[28:29], s[6:7], v[56:57]
	;; [unrolled: 2-line block ×7, first 2 shown]
	ds_write2_b64 v87, v[6:7], v[4:5] offset0:56 offset1:63
	v_fma_f64 v[4:5], v[16:17], s[34:35], v[18:19]
	v_fma_f64 v[6:7], v[24:25], s[6:7], v[26:27]
	buffer_store_dword v138, off, s[40:43], 0 offset:220 ; 4-byte Folded Spill
	buffer_store_dword v139, off, s[40:43], 0 offset:224 ; 4-byte Folded Spill
	v_add_f64 v[16:17], v[209:210], v[94:95]
	buffer_store_dword v130, off, s[40:43], 0 offset:236 ; 4-byte Folded Spill
	buffer_store_dword v131, off, s[40:43], 0 offset:240 ; 4-byte Folded Spill
	;; [unrolled: 1-line block ×6, first 2 shown]
	v_add_f64 v[24:25], v[141:142], v[146:147]
	v_add_f64 v[4:5], v[226:227], v[4:5]
	v_add_f64 v[4:5], v[6:7], v[4:5]
	v_add_f64 v[4:5], v[10:11], v[4:5]
	v_add_f64 v[4:5], v[12:13], v[4:5]
	v_add_f64 v[4:5], v[14:15], v[4:5]
	v_add_f64 v[14:15], v[122:123], -v[112:113]
	ds_write_b64 v87, v[4:5] offset:560
	buffer_store_dword v209, off, s[40:43], 0 offset:252 ; 4-byte Folded Spill
	buffer_store_dword v210, off, s[40:43], 0 offset:256 ; 4-byte Folded Spill
	;; [unrolled: 1-line block ×4, first 2 shown]
	v_mul_u32_u24_sdwa v4, v60, v58 dst_sel:DWORD dst_unused:UNUSED_PAD src0_sel:WORD_0 src1_sel:DWORD
	v_lshlrev_b32_sdwa v5, v59, v61 dst_sel:DWORD dst_unused:UNUSED_PAD src0_sel:DWORD src1_sel:BYTE_0
	v_mul_f64 v[40:41], v[14:15], s[24:25]
	v_add3_u32 v84, 0, v4, v5
	v_add_f64 v[6:7], v[138:139], -v[90:91]
	v_add_f64 v[22:23], v[130:131], -v[126:127]
	;; [unrolled: 1-line block ×4, first 2 shown]
	v_mul_f64 v[18:19], v[6:7], s[36:37]
	v_mul_f64 v[26:27], v[22:23], s[20:21]
	;; [unrolled: 1-line block ×5, first 2 shown]
	v_fma_f64 v[20:21], v[16:17], s[34:35], -v[18:19]
	v_fma_f64 v[28:29], v[24:25], s[6:7], -v[26:27]
	;; [unrolled: 1-line block ×3, first 2 shown]
	v_add_f64 v[20:21], v[224:225], v[20:21]
	v_add_f64 v[20:21], v[28:29], v[20:21]
	v_add_f64 v[28:29], v[132:133], v[136:137]
	v_fma_f64 v[32:33], v[28:29], s[16:17], -v[30:31]
	v_add_f64 v[4:5], v[224:225], v[209:210]
	v_add_f64 v[20:21], v[32:33], v[20:21]
	v_add_f64 v[32:33], v[134:135], v[120:121]
	v_add_f64 v[4:5], v[4:5], v[141:142]
	v_fma_f64 v[38:39], v[32:33], s[8:9], -v[34:35]
	v_add_f64 v[4:5], v[4:5], v[132:133]
	;; [unrolled: 5-line block ×3, first 2 shown]
	v_add_f64 v[20:21], v[42:43], v[20:21]
	v_mul_f64 v[42:43], v[22:23], s[18:19]
	v_add_f64 v[4:5], v[4:5], v[114:115]
	v_fma_f64 v[46:47], v[24:25], s[8:9], -v[42:43]
	v_add_f64 v[4:5], v[4:5], v[120:121]
	v_add_f64 v[4:5], v[4:5], v[136:137]
	;; [unrolled: 1-line block ×4, first 2 shown]
	ds_write2_b64 v84, v[4:5], v[20:21] offset1:7
	v_mul_f64 v[4:5], v[6:7], s[20:21]
	v_fma_f64 v[20:21], v[16:17], s[6:7], -v[4:5]
	v_fma_f64 v[4:5], v[16:17], s[6:7], v[4:5]
	v_add_f64 v[20:21], v[224:225], v[20:21]
	v_add_f64 v[4:5], v[224:225], v[4:5]
	;; [unrolled: 1-line block ×3, first 2 shown]
	v_mul_f64 v[46:47], v[6:7], s[22:23]
	v_fma_f64 v[48:49], v[16:17], s[16:17], -v[46:47]
	v_add_f64 v[48:49], v[224:225], v[48:49]
	v_add_f64 v[48:49], v[54:55], v[48:49]
	v_mul_f64 v[54:55], v[10:11], s[26:27]
	v_fma_f64 v[56:57], v[28:29], s[14:15], -v[54:55]
	v_add_f64 v[20:21], v[56:57], v[20:21]
	v_mul_f64 v[56:57], v[10:11], s[28:29]
	v_fma_f64 v[60:61], v[28:29], s[6:7], -v[56:57]
	;; [unrolled: 3-line block ×6, first 2 shown]
	v_add_f64 v[48:49], v[68:69], v[48:49]
	v_mul_f64 v[68:69], v[22:23], s[30:31]
	v_mul_f64 v[22:23], v[22:23], s[38:39]
	ds_write2_b64 v84, v[20:21], v[48:49] offset0:14 offset1:21
	v_mul_f64 v[20:21], v[6:7], s[18:19]
	v_fma_f64 v[70:71], v[24:25], s[16:17], -v[68:69]
	v_mul_f64 v[6:7], v[6:7], s[24:25]
	v_fma_f64 v[96:97], v[24:25], s[34:35], -v[22:23]
	v_fma_f64 v[22:23], v[24:25], s[34:35], v[22:23]
	v_fma_f64 v[48:49], v[16:17], s[8:9], -v[20:21]
	v_fma_f64 v[20:21], v[16:17], s[8:9], v[20:21]
	v_add_f64 v[48:49], v[224:225], v[48:49]
	v_add_f64 v[20:21], v[224:225], v[20:21]
	;; [unrolled: 1-line block ×3, first 2 shown]
	v_fma_f64 v[70:71], v[16:17], s[14:15], -v[6:7]
	v_fma_f64 v[6:7], v[16:17], s[14:15], v[6:7]
	v_add_f64 v[70:71], v[224:225], v[70:71]
	v_add_f64 v[6:7], v[224:225], v[6:7]
	v_add_f64 v[70:71], v[96:97], v[70:71]
	v_mul_f64 v[96:97], v[10:11], s[36:37]
	v_mul_f64 v[10:11], v[10:11], s[18:19]
	v_add_f64 v[6:7], v[22:23], v[6:7]
	v_fma_f64 v[98:99], v[28:29], s[34:35], -v[96:97]
	v_fma_f64 v[22:23], v[28:29], s[34:35], v[96:97]
	v_add_f64 v[48:49], v[98:99], v[48:49]
	v_fma_f64 v[98:99], v[28:29], s[8:9], -v[10:11]
	v_fma_f64 v[10:11], v[28:29], s[8:9], v[10:11]
	v_add_f64 v[70:71], v[98:99], v[70:71]
	v_mul_f64 v[98:99], v[12:13], s[24:25]
	v_mul_f64 v[12:13], v[12:13], s[28:29]
	v_add_f64 v[6:7], v[10:11], v[6:7]
	v_fma_f64 v[104:105], v[32:33], s[14:15], -v[98:99]
	v_fma_f64 v[10:11], v[32:33], s[14:15], v[98:99]
	v_add_f64 v[48:49], v[104:105], v[48:49]
	v_fma_f64 v[104:105], v[32:33], s[6:7], -v[12:13]
	v_fma_f64 v[12:13], v[32:33], s[6:7], v[12:13]
	v_add_f64 v[70:71], v[104:105], v[70:71]
	v_mul_f64 v[104:105], v[14:15], s[28:29]
	v_mul_f64 v[14:15], v[14:15], s[22:23]
	v_add_f64 v[6:7], v[12:13], v[6:7]
	v_fma_f64 v[106:107], v[38:39], s[6:7], -v[104:105]
	v_fma_f64 v[12:13], v[38:39], s[6:7], v[104:105]
	v_add_f64 v[48:49], v[106:107], v[48:49]
	v_fma_f64 v[106:107], v[38:39], s[16:17], -v[14:15]
	v_add_f64 v[70:71], v[106:107], v[70:71]
	ds_write2_b64 v84, v[48:49], v[70:71] offset0:28 offset1:35
	v_fma_f64 v[48:49], v[24:25], s[16:17], v[68:69]
	v_add_f64 v[20:21], v[48:49], v[20:21]
	v_add_f64 v[20:21], v[22:23], v[20:21]
	;; [unrolled: 1-line block ×4, first 2 shown]
	v_fma_f64 v[12:13], v[38:39], s[16:17], v[14:15]
	v_add_f64 v[6:7], v[12:13], v[6:7]
	ds_write2_b64 v84, v[6:7], v[10:11] offset0:42 offset1:49
	v_fma_f64 v[6:7], v[24:25], s[8:9], v[42:43]
	v_fma_f64 v[10:11], v[24:25], s[14:15], v[50:51]
	v_add_f64 v[4:5], v[6:7], v[4:5]
	v_fma_f64 v[6:7], v[16:17], s[16:17], v[46:47]
	v_add_f64 v[6:7], v[224:225], v[6:7]
	v_add_f64 v[6:7], v[10:11], v[6:7]
	v_fma_f64 v[10:11], v[28:29], s[14:15], v[54:55]
	v_add_f64 v[4:5], v[10:11], v[4:5]
	v_fma_f64 v[10:11], v[28:29], s[6:7], v[56:57]
	;; [unrolled: 2-line block ×6, first 2 shown]
	v_add_f64 v[6:7], v[10:11], v[6:7]
	ds_write2_b64 v84, v[6:7], v[4:5] offset0:56 offset1:63
	v_fma_f64 v[4:5], v[16:17], s[34:35], v[18:19]
	v_fma_f64 v[6:7], v[24:25], s[6:7], v[26:27]
	v_add_f64 v[4:5], v[224:225], v[4:5]
	v_add_f64 v[4:5], v[6:7], v[4:5]
	v_fma_f64 v[6:7], v[28:29], s[16:17], v[30:31]
	v_add_f64 v[4:5], v[6:7], v[4:5]
	v_fma_f64 v[6:7], v[32:33], s[8:9], v[34:35]
	;; [unrolled: 2-line block ×3, first 2 shown]
	v_add_f64 v[4:5], v[6:7], v[4:5]
	ds_write_b64 v84, v[4:5] offset:560
	s_and_saveexec_b32 s1, s0
	s_cbranch_execz .LBB0_19
; %bb.18:
	s_clause 0x3
	buffer_load_dword v4, off, s[40:43], 0 offset:60
	buffer_load_dword v5, off, s[40:43], 0 offset:64
	;; [unrolled: 1-line block ×4, first 2 shown]
	s_waitcnt vmcnt(0)
	v_add_f64 v[4:5], v[6:7], -v[4:5]
	s_clause 0xb
	buffer_load_dword v6, off, s[40:43], 0 offset:68
	buffer_load_dword v7, off, s[40:43], 0 offset:72
	buffer_load_dword v10, off, s[40:43], 0 offset:180
	buffer_load_dword v11, off, s[40:43], 0 offset:184
	buffer_load_dword v110, off, s[40:43], 0 offset:196
	buffer_load_dword v111, off, s[40:43], 0 offset:200
	buffer_load_dword v128, off, s[40:43], 0 offset:212
	buffer_load_dword v129, off, s[40:43], 0 offset:216
	buffer_load_dword v106, off, s[40:43], 0 offset:172
	buffer_load_dword v107, off, s[40:43], 0 offset:176
	buffer_load_dword v108, off, s[40:43], 0 offset:188
	buffer_load_dword v109, off, s[40:43], 0 offset:192
	v_mul_f64 v[12:13], v[4:5], s[24:25]
	v_mul_f64 v[14:15], v[4:5], s[18:19]
	;; [unrolled: 1-line block ×5, first 2 shown]
	s_waitcnt vmcnt(8)
	v_add_f64 v[6:7], v[10:11], -v[6:7]
	s_waitcnt vmcnt(4)
	v_add_f64 v[10:11], v[110:111], v[128:129]
	s_waitcnt vmcnt(0)
	v_add_f64 v[38:39], v[106:107], v[108:109]
	v_mul_f64 v[20:21], v[6:7], s[38:39]
	v_mul_f64 v[22:23], v[6:7], s[30:31]
	;; [unrolled: 1-line block ×3, first 2 shown]
	v_fma_f64 v[26:27], v[10:11], s[14:15], v[12:13]
	v_fma_f64 v[12:13], v[10:11], s[14:15], -v[12:13]
	v_fma_f64 v[28:29], v[10:11], s[8:9], v[14:15]
	v_fma_f64 v[14:15], v[10:11], s[8:9], -v[14:15]
	v_fma_f64 v[30:31], v[10:11], s[16:17], -v[16:17]
	;; [unrolled: 1-line block ×3, first 2 shown]
	v_fma_f64 v[16:17], v[10:11], s[16:17], v[16:17]
	v_fma_f64 v[18:19], v[10:11], s[6:7], v[18:19]
	v_fma_f64 v[34:35], v[10:11], s[34:35], -v[4:5]
	v_fma_f64 v[4:5], v[10:11], s[34:35], v[4:5]
	v_mul_f64 v[10:11], v[6:7], s[18:19]
	v_mul_f64 v[6:7], v[6:7], s[20:21]
	v_fma_f64 v[40:41], v[38:39], s[34:35], v[20:21]
	v_fma_f64 v[20:21], v[38:39], s[34:35], -v[20:21]
	v_fma_f64 v[42:43], v[38:39], s[16:17], v[22:23]
	v_fma_f64 v[22:23], v[38:39], s[16:17], -v[22:23]
	;; [unrolled: 2-line block ×3, first 2 shown]
	v_add_f64 v[14:15], v[222:223], v[14:15]
	v_add_f64 v[26:27], v[222:223], v[26:27]
	;; [unrolled: 1-line block ×6, first 2 shown]
	v_fma_f64 v[48:49], v[38:39], s[8:9], v[10:11]
	v_fma_f64 v[10:11], v[38:39], s[8:9], -v[10:11]
	v_fma_f64 v[50:51], v[38:39], s[6:7], v[6:7]
	v_fma_f64 v[6:7], v[38:39], s[6:7], -v[6:7]
	s_clause 0x7
	buffer_load_dword v38, off, s[40:43], 0 offset:76
	buffer_load_dword v39, off, s[40:43], 0 offset:80
	;; [unrolled: 1-line block ×8, first 2 shown]
	v_add_f64 v[14:15], v[22:23], v[14:15]
	v_add_f64 v[22:23], v[222:223], v[30:31]
	;; [unrolled: 1-line block ×14, first 2 shown]
	s_waitcnt vmcnt(4)
	v_add_f64 v[38:39], v[54:55], -v[38:39]
	s_waitcnt vmcnt(0)
	v_add_f64 v[64:65], v[100:101], v[104:105]
	v_mul_f64 v[54:55], v[38:39], s[18:19]
	v_mul_f64 v[56:57], v[38:39], s[36:37]
	;; [unrolled: 1-line block ×5, first 2 shown]
	v_fma_f64 v[66:67], v[64:65], s[8:9], v[54:55]
	v_fma_f64 v[54:55], v[64:65], s[8:9], -v[54:55]
	v_fma_f64 v[68:69], v[64:65], s[34:35], v[56:57]
	v_fma_f64 v[56:57], v[64:65], s[34:35], -v[56:57]
	v_fma_f64 v[98:99], v[64:65], s[16:17], v[38:39]
	v_fma_f64 v[70:71], v[64:65], s[6:7], v[60:61]
	v_fma_f64 v[60:61], v[64:65], s[6:7], -v[60:61]
	v_fma_f64 v[96:97], v[64:65], s[14:15], v[62:63]
	v_fma_f64 v[62:63], v[64:65], s[14:15], -v[62:63]
	v_fma_f64 v[38:39], v[64:65], s[16:17], -v[38:39]
	v_add_f64 v[24:25], v[66:67], v[26:27]
	s_clause 0x7
	buffer_load_dword v26, off, s[40:43], 0 offset:84
	buffer_load_dword v27, off, s[40:43], 0 offset:88
	;; [unrolled: 1-line block ×8, first 2 shown]
	v_add_f64 v[12:13], v[54:55], v[12:13]
	v_add_f64 v[14:15], v[56:57], v[14:15]
	;; [unrolled: 1-line block ×9, first 2 shown]
	s_waitcnt vmcnt(4)
	v_add_f64 v[26:27], v[28:29], -v[26:27]
	s_waitcnt vmcnt(0)
	v_add_f64 v[40:41], v[88:89], v[92:93]
	v_mul_f64 v[28:29], v[26:27], s[28:29]
	v_mul_f64 v[30:31], v[26:27], s[24:25]
	;; [unrolled: 1-line block ×5, first 2 shown]
	v_fma_f64 v[42:43], v[40:41], s[6:7], v[28:29]
	v_fma_f64 v[28:29], v[40:41], s[6:7], -v[28:29]
	v_fma_f64 v[46:47], v[40:41], s[14:15], v[30:31]
	v_fma_f64 v[30:31], v[40:41], s[14:15], -v[30:31]
	v_fma_f64 v[54:55], v[40:41], s[8:9], -v[26:27]
	v_fma_f64 v[26:27], v[40:41], s[8:9], v[26:27]
	v_fma_f64 v[48:49], v[40:41], s[34:35], -v[32:33]
	v_fma_f64 v[32:33], v[40:41], s[34:35], v[32:33]
	;; [unrolled: 2-line block ×3, first 2 shown]
	v_add_f64 v[24:25], v[42:43], v[24:25]
	v_add_f64 v[12:13], v[28:29], v[12:13]
	;; [unrolled: 1-line block ×4, first 2 shown]
	s_clause 0x7
	buffer_load_dword v28, off, s[40:43], 0 offset:92
	buffer_load_dword v29, off, s[40:43], 0 offset:96
	;; [unrolled: 1-line block ×8, first 2 shown]
	v_add_f64 v[4:5], v[26:27], v[4:5]
	v_add_f64 v[26:27], v[222:223], v[110:111]
	;; [unrolled: 1-line block ×10, first 2 shown]
	s_waitcnt vmcnt(2)
	v_add_f64 v[26:27], v[26:27], v[66:67]
	v_add_f64 v[28:29], v[30:31], -v[28:29]
	s_waitcnt vmcnt(0)
	v_add_f64 v[46:47], v[66:67], v[68:69]
	v_add_f64 v[26:27], v[26:27], v[68:69]
	v_mul_f64 v[40:41], v[28:29], s[18:19]
	v_mul_f64 v[42:43], v[28:29], s[38:39]
	;; [unrolled: 1-line block ×5, first 2 shown]
	v_add_f64 v[26:27], v[26:27], v[92:93]
	v_fma_f64 v[60:61], v[46:47], s[8:9], -v[40:41]
	v_fma_f64 v[62:63], v[46:47], s[34:35], -v[42:43]
	v_fma_f64 v[48:49], v[46:47], s[16:17], v[30:31]
	v_fma_f64 v[30:31], v[46:47], s[16:17], -v[30:31]
	v_fma_f64 v[56:57], v[46:47], s[6:7], v[38:39]
	v_fma_f64 v[38:39], v[46:47], s[6:7], -v[38:39]
	v_fma_f64 v[40:41], v[46:47], s[8:9], v[40:41]
	v_fma_f64 v[42:43], v[46:47], s[34:35], v[42:43]
	v_fma_f64 v[64:65], v[46:47], s[14:15], -v[28:29]
	v_fma_f64 v[28:29], v[46:47], s[14:15], v[28:29]
	v_add_f64 v[26:27], v[26:27], v[104:105]
	v_add_f64 v[22:23], v[60:61], v[22:23]
	;; [unrolled: 1-line block ×11, first 2 shown]
	v_mul_u32_u24_sdwa v28, v72, v58 dst_sel:DWORD dst_unused:UNUSED_PAD src0_sel:WORD_0 src1_sel:DWORD
	v_lshlrev_b32_sdwa v29, v59, v73 dst_sel:DWORD dst_unused:UNUSED_PAD src0_sel:DWORD src1_sel:BYTE_0
	v_add3_u32 v28, 0, v28, v29
	v_add_f64 v[26:27], v[26:27], v[108:109]
	v_add_f64 v[26:27], v[26:27], v[128:129]
	ds_write2_b64 v28, v[10:11], v[22:23] offset0:14 offset1:21
	ds_write2_b64 v28, v[14:15], v[12:13] offset0:28 offset1:35
	;; [unrolled: 1-line block ×4, first 2 shown]
	ds_write2_b64 v28, v[26:27], v[6:7] offset1:7
	ds_write_b64 v28, v[4:5] offset:560
.LBB0_19:
	s_or_b32 exec_lo, exec_lo, s1
	v_add_f64 v[2:3], v[2:3], -v[232:233]
	v_add_f64 v[14:15], v[8:9], v[186:187]
	v_add_f64 v[234:235], v[212:213], -v[36:37]
	v_add_f64 v[232:233], v[230:231], -v[228:229]
	;; [unrolled: 1-line block ×3, first 2 shown]
	v_add_f64 v[214:215], v[162:163], v[102:103]
	v_add_f64 v[222:223], v[0:1], v[8:9]
	v_add_f64 v[230:231], v[196:197], v[182:183]
	v_add_f64 v[240:241], v[174:175], v[80:81]
	v_add_f64 v[216:217], v[52:53], -v[216:217]
	v_add_f64 v[60:61], v[78:79], v[178:179]
	s_waitcnt lgkmcnt(0)
	s_waitcnt_vscnt null, 0x0
	s_barrier
	buffer_gl0_inv
	ds_read_b64 v[212:213], v239
	v_add_nc_u32_e32 v201, 0x800, v239
	v_add_nc_u32_e32 v202, 0x1400, v239
	;; [unrolled: 1-line block ×7, first 2 shown]
	v_mul_f64 v[4:5], v[2:3], s[36:37]
	v_mul_f64 v[6:7], v[2:3], s[20:21]
	;; [unrolled: 1-line block ×13, first 2 shown]
	v_add_nc_u32_e32 v207, 0x2400, v239
	v_add_nc_u32_e32 v208, 0x1000, v239
	;; [unrolled: 1-line block ×4, first 2 shown]
	v_fma_f64 v[16:17], v[14:15], s[34:35], v[4:5]
	v_fma_f64 v[4:5], v[14:15], s[34:35], -v[4:5]
	v_fma_f64 v[18:19], v[14:15], s[6:7], v[6:7]
	v_fma_f64 v[6:7], v[14:15], s[6:7], -v[6:7]
	;; [unrolled: 2-line block ×5, first 2 shown]
	v_add_f64 v[226:227], v[0:1], v[16:17]
	v_add_f64 v[224:225], v[0:1], v[4:5]
	;; [unrolled: 1-line block ×10, first 2 shown]
	v_fma_f64 v[0:1], v[214:215], s[8:9], v[244:245]
	v_fma_f64 v[2:3], v[214:215], s[14:15], v[246:247]
	v_add_f64 v[0:1], v[0:1], v[4:5]
	v_fma_f64 v[4:5], v[230:231], s[14:15], v[248:249]
	v_add_f64 v[2:3], v[2:3], v[6:7]
	v_add_f64 v[0:1], v[4:5], v[0:1]
	v_fma_f64 v[4:5], v[230:231], s[6:7], v[62:63]
	v_fma_f64 v[62:63], v[230:231], s[6:7], -v[62:63]
	v_add_f64 v[2:3], v[4:5], v[2:3]
	v_fma_f64 v[4:5], v[240:241], s[16:17], v[64:65]
	v_fma_f64 v[64:65], v[240:241], s[16:17], -v[64:65]
	;; [unrolled: 3-line block ×3, first 2 shown]
	v_add_f64 v[2:3], v[4:5], v[2:3]
	v_fma_f64 v[4:5], v[60:61], s[34:35], v[68:69]
	v_add_f64 v[144:145], v[4:5], v[0:1]
	v_fma_f64 v[0:1], v[60:61], s[8:9], v[100:101]
	v_add_f64 v[92:93], v[0:1], v[2:3]
	buffer_load_dword v0, off, s[40:43], 0 offset:32 ; 4-byte Folded Reload
	v_lshl_add_u32 v2, v238, 3, 0
	v_add_nc_u32_e32 v211, 0x800, v2
	s_waitcnt vmcnt(0)
	v_lshl_add_u32 v1, v0, 3, 0
	buffer_load_dword v0, off, s[40:43], 0  ; 4-byte Folded Reload
	buffer_store_dword v1, off, s[40:43], 0 offset:56 ; 4-byte Folded Spill
	s_waitcnt vmcnt(0)
	ds_read_b64 v[98:99], v0
	buffer_load_dword v0, off, s[40:43], 0 offset:40 ; 4-byte Folded Reload
	s_waitcnt vmcnt(0)
	ds_read_b64 v[104:105], v0
	buffer_load_dword v0, off, s[40:43], 0 offset:36 ; 4-byte Folded Reload
	s_waitcnt vmcnt(0)
	ds_read_b64 v[106:107], v0
	ds_read_b64 v[96:97], v1
	ds_read2_b64 v[56:59], v201 offset0:129 offset1:184
	ds_read2_b64 v[12:15], v202 offset0:75 offset1:130
	;; [unrolled: 1-line block ×15, first 2 shown]
	s_waitcnt lgkmcnt(0)
	s_waitcnt_vscnt null, 0x0
	s_barrier
	buffer_gl0_inv
	ds_write2_b64 v86, v[144:145], v[92:93] offset0:14 offset1:21
	v_mul_f64 v[92:93], v[234:235], s[30:31]
	v_fma_f64 v[144:145], v[214:215], s[16:17], v[92:93]
	v_add_f64 v[144:145], v[144:145], v[254:255]
	v_mul_f64 v[254:255], v[234:235], s[38:39]
	v_fma_f64 v[108:109], v[214:215], s[34:35], v[254:255]
	v_add_f64 v[108:109], v[108:109], v[252:253]
	v_mul_f64 v[252:253], v[232:233], s[36:37]
	v_fma_f64 v[110:111], v[230:231], s[34:35], v[252:253]
	v_add_f64 v[110:111], v[110:111], v[144:145]
	v_mul_f64 v[144:145], v[232:233], s[18:19]
	v_fma_f64 v[88:89], v[230:231], s[8:9], v[144:145]
	v_add_f64 v[88:89], v[88:89], v[108:109]
	v_mul_f64 v[108:109], v[228:229], s[24:25]
	v_fma_f64 v[128:129], v[240:241], s[14:15], v[108:109]
	v_fma_f64 v[108:109], v[240:241], s[14:15], -v[108:109]
	v_add_f64 v[110:111], v[128:129], v[110:111]
	v_mul_f64 v[128:129], v[228:229], s[28:29]
	v_fma_f64 v[140:141], v[240:241], s[6:7], v[128:129]
	v_add_f64 v[88:89], v[140:141], v[88:89]
	v_mul_f64 v[140:141], v[216:217], s[28:29]
	v_fma_f64 v[130:131], v[60:61], s[6:7], v[140:141]
	v_add_f64 v[110:111], v[130:131], v[110:111]
	v_mul_f64 v[130:131], v[216:217], s[22:23]
	v_fma_f64 v[138:139], v[60:61], s[16:17], v[130:131]
	v_add_f64 v[88:89], v[138:139], v[88:89]
	ds_write2_b64 v86, v[110:111], v[88:89] offset0:28 offset1:35
	v_fma_f64 v[88:89], v[214:215], s[16:17], -v[92:93]
	v_fma_f64 v[92:93], v[214:215], s[34:35], -v[254:255]
	;; [unrolled: 1-line block ×3, first 2 shown]
	v_add_f64 v[88:89], v[88:89], v[242:243]
	v_add_f64 v[92:93], v[92:93], v[250:251]
	;; [unrolled: 1-line block ×3, first 2 shown]
	v_fma_f64 v[110:111], v[230:231], s[8:9], -v[144:145]
	v_add_f64 v[88:89], v[108:109], v[88:89]
	v_add_f64 v[92:93], v[110:111], v[92:93]
	v_fma_f64 v[108:109], v[240:241], s[6:7], -v[128:129]
	v_add_f64 v[92:93], v[108:109], v[92:93]
	v_fma_f64 v[108:109], v[60:61], s[6:7], -v[140:141]
	;; [unrolled: 2-line block ×3, first 2 shown]
	v_add_f64 v[92:93], v[108:109], v[92:93]
	ds_write2_b64 v86, v[92:93], v[88:89] offset0:42 offset1:49
	v_fma_f64 v[88:89], v[214:215], s[8:9], -v[244:245]
	v_fma_f64 v[92:93], v[214:215], s[14:15], -v[246:247]
	v_add_f64 v[88:89], v[88:89], v[236:237]
	v_add_f64 v[70:71], v[92:93], v[70:71]
	v_fma_f64 v[92:93], v[230:231], s[14:15], -v[248:249]
	v_add_f64 v[62:63], v[62:63], v[70:71]
	v_add_f64 v[88:89], v[92:93], v[88:89]
	v_add_f64 v[62:63], v[66:67], v[62:63]
	v_add_f64 v[64:65], v[64:65], v[88:89]
	v_fma_f64 v[66:67], v[60:61], s[34:35], -v[68:69]
	v_mul_f64 v[68:69], v[232:233], s[22:23]
	v_add_f64 v[64:65], v[66:67], v[64:65]
	v_fma_f64 v[66:67], v[60:61], s[8:9], -v[100:101]
	v_fma_f64 v[70:71], v[230:231], s[16:17], v[68:69]
	v_add_f64 v[62:63], v[66:67], v[62:63]
	ds_write2_b64 v86, v[62:63], v[64:65] offset0:56 offset1:63
	v_add_f64 v[62:63], v[222:223], v[162:163]
	v_mul_f64 v[64:65], v[234:235], s[20:21]
	v_add_f64 v[62:63], v[62:63], v[196:197]
	v_fma_f64 v[66:67], v[214:215], s[6:7], v[64:65]
	v_add_f64 v[62:63], v[62:63], v[174:175]
	v_add_f64 v[66:67], v[66:67], v[226:227]
	;; [unrolled: 1-line block ×4, first 2 shown]
	v_mul_f64 v[70:71], v[228:229], s[18:19]
	v_add_f64 v[62:63], v[62:63], v[178:179]
	v_fma_f64 v[78:79], v[240:241], s[8:9], v[70:71]
	v_add_f64 v[62:63], v[62:63], v[80:81]
	v_add_f64 v[66:67], v[78:79], v[66:67]
	v_mul_f64 v[78:79], v[216:217], s[24:25]
	v_add_f64 v[62:63], v[62:63], v[182:183]
	v_fma_f64 v[80:81], v[60:61], s[14:15], v[78:79]
	v_fma_f64 v[60:61], v[60:61], s[14:15], -v[78:79]
	v_add_f64 v[78:79], v[176:177], v[154:155]
	v_add_f64 v[62:63], v[62:63], v[102:103]
	;; [unrolled: 1-line block ×5, first 2 shown]
	ds_write2_b64 v86, v[62:63], v[66:67] offset1:7
	v_fma_f64 v[62:63], v[214:215], s[6:7], -v[64:65]
	v_fma_f64 v[64:65], v[230:231], s[16:17], -v[68:69]
	;; [unrolled: 1-line block ×3, first 2 shown]
	v_add_f64 v[70:71], v[168:169], v[176:177]
	v_add_f64 v[68:69], v[194:195], -v[170:171]
	v_add_f64 v[62:63], v[62:63], v[224:225]
	v_add_f64 v[70:71], v[70:71], v[156:157]
	v_mul_f64 v[108:109], v[68:69], s[24:25]
	v_add_f64 v[62:63], v[64:65], v[62:63]
	v_add_f64 v[64:65], v[192:193], -v[172:173]
	v_add_f64 v[70:71], v[70:71], v[188:189]
	v_add_f64 v[62:63], v[66:67], v[62:63]
	v_add_f64 v[66:67], v[158:159], -v[76:77]
	v_mul_f64 v[100:101], v[64:65], s[22:23]
	v_add_f64 v[70:71], v[70:71], v[152:153]
	v_add_f64 v[76:77], v[152:153], v[198:199]
	;; [unrolled: 1-line block ×3, first 2 shown]
	v_add_f64 v[62:63], v[160:161], -v[82:83]
	v_add_f64 v[70:71], v[70:71], v[190:191]
	ds_write_b64 v86, v[60:61] offset:560
	v_add_f64 v[60:61], v[184:185], -v[180:181]
	v_mul_f64 v[88:89], v[62:63], s[20:21]
	v_add_f64 v[70:71], v[70:71], v[148:149]
	v_mul_f64 v[138:139], v[62:63], s[26:27]
	v_mul_f64 v[82:83], v[60:61], s[36:37]
	v_fma_f64 v[92:93], v[80:81], s[6:7], v[88:89]
	v_add_f64 v[70:71], v[70:71], v[198:199]
	v_fma_f64 v[140:141], v[80:81], s[14:15], v[138:139]
	v_fma_f64 v[85:86], v[78:79], s[34:35], v[82:83]
	v_add_f64 v[70:71], v[70:71], v[150:151]
	v_add_f64 v[85:86], v[168:169], v[85:86]
	;; [unrolled: 1-line block ×3, first 2 shown]
	v_mul_f64 v[74:75], v[66:67], s[18:19]
	v_add_f64 v[85:86], v[92:93], v[85:86]
	v_add_f64 v[92:93], v[188:189], v[150:151]
	;; [unrolled: 1-line block ×3, first 2 shown]
	v_fma_f64 v[102:103], v[92:93], s[16:17], v[100:101]
	v_add_f64 v[85:86], v[102:103], v[85:86]
	v_fma_f64 v[102:103], v[76:77], s[8:9], v[74:75]
	v_add_f64 v[85:86], v[102:103], v[85:86]
	v_add_f64 v[102:103], v[190:191], v[148:149]
	v_fma_f64 v[110:111], v[102:103], s[14:15], v[108:109]
	v_add_f64 v[85:86], v[110:111], v[85:86]
	v_mul_f64 v[110:111], v[62:63], s[18:19]
	ds_write2_b64 v87, v[70:71], v[85:86] offset1:7
	v_mul_f64 v[70:71], v[60:61], s[20:21]
	v_fma_f64 v[128:129], v[80:81], s[8:9], v[110:111]
	v_fma_f64 v[85:86], v[78:79], s[6:7], v[70:71]
	v_add_f64 v[85:86], v[168:169], v[85:86]
	v_add_f64 v[85:86], v[128:129], v[85:86]
	v_mul_f64 v[128:129], v[60:61], s[22:23]
	v_fma_f64 v[130:131], v[78:79], s[16:17], v[128:129]
	v_add_f64 v[130:131], v[168:169], v[130:131]
	v_add_f64 v[130:131], v[140:141], v[130:131]
	v_mul_f64 v[140:141], v[64:65], s[26:27]
	v_fma_f64 v[144:145], v[92:93], s[14:15], v[140:141]
	v_add_f64 v[85:86], v[144:145], v[85:86]
	v_mul_f64 v[144:145], v[64:65], s[28:29]
	v_fma_f64 v[148:149], v[92:93], s[6:7], v[144:145]
	;; [unrolled: 3-line block ×6, first 2 shown]
	v_add_f64 v[130:131], v[156:157], v[130:131]
	v_mul_f64 v[156:157], v[62:63], s[30:31]
	v_mul_f64 v[62:63], v[62:63], s[38:39]
	ds_write2_b64 v87, v[85:86], v[130:131] offset0:14 offset1:21
	v_mul_f64 v[85:86], v[60:61], s[18:19]
	v_fma_f64 v[158:159], v[80:81], s[16:17], v[156:157]
	v_mul_f64 v[60:61], v[60:61], s[24:25]
	v_fma_f64 v[160:161], v[80:81], s[34:35], v[62:63]
	v_fma_f64 v[62:63], v[80:81], s[34:35], -v[62:63]
	v_fma_f64 v[130:131], v[78:79], s[8:9], v[85:86]
	v_fma_f64 v[85:86], v[78:79], s[8:9], -v[85:86]
	v_add_f64 v[130:131], v[168:169], v[130:131]
	v_add_f64 v[85:86], v[168:169], v[85:86]
	;; [unrolled: 1-line block ×3, first 2 shown]
	v_fma_f64 v[158:159], v[78:79], s[14:15], v[60:61]
	v_fma_f64 v[60:61], v[78:79], s[14:15], -v[60:61]
	v_add_f64 v[158:159], v[168:169], v[158:159]
	v_add_f64 v[60:61], v[168:169], v[60:61]
	;; [unrolled: 1-line block ×3, first 2 shown]
	v_mul_f64 v[160:161], v[64:65], s[36:37]
	v_mul_f64 v[64:65], v[64:65], s[18:19]
	v_add_f64 v[60:61], v[62:63], v[60:61]
	v_fma_f64 v[162:163], v[92:93], s[34:35], v[160:161]
	v_fma_f64 v[62:63], v[92:93], s[34:35], -v[160:161]
	v_add_f64 v[130:131], v[162:163], v[130:131]
	v_fma_f64 v[162:163], v[92:93], s[8:9], v[64:65]
	v_fma_f64 v[64:65], v[92:93], s[8:9], -v[64:65]
	v_add_f64 v[158:159], v[162:163], v[158:159]
	v_mul_f64 v[162:163], v[66:67], s[24:25]
	v_mul_f64 v[66:67], v[66:67], s[28:29]
	v_add_f64 v[60:61], v[64:65], v[60:61]
	v_fma_f64 v[170:171], v[76:77], s[14:15], v[162:163]
	v_fma_f64 v[64:65], v[76:77], s[14:15], -v[162:163]
	v_add_f64 v[130:131], v[170:171], v[130:131]
	v_fma_f64 v[170:171], v[76:77], s[6:7], v[66:67]
	v_add_f64 v[158:159], v[170:171], v[158:159]
	v_mul_f64 v[170:171], v[68:69], s[28:29]
	v_mul_f64 v[68:69], v[68:69], s[22:23]
	v_fma_f64 v[172:173], v[102:103], s[6:7], v[170:171]
	v_add_f64 v[130:131], v[172:173], v[130:131]
	v_fma_f64 v[172:173], v[102:103], s[16:17], v[68:69]
	v_add_f64 v[158:159], v[172:173], v[158:159]
	ds_write2_b64 v87, v[130:131], v[158:159] offset0:28 offset1:35
	v_fma_f64 v[130:131], v[80:81], s[16:17], -v[156:157]
	v_add_f64 v[85:86], v[130:131], v[85:86]
	v_add_f64 v[62:63], v[62:63], v[85:86]
	;; [unrolled: 1-line block ×3, first 2 shown]
	v_fma_f64 v[64:65], v[76:77], s[6:7], -v[66:67]
	v_add_f64 v[66:67], v[134:135], -v[120:121]
	v_add_f64 v[60:61], v[64:65], v[60:61]
	v_fma_f64 v[64:65], v[102:103], s[6:7], -v[170:171]
	v_add_f64 v[62:63], v[64:65], v[62:63]
	v_fma_f64 v[64:65], v[102:103], s[16:17], -v[68:69]
	;; [unrolled: 2-line block ×3, first 2 shown]
	ds_write2_b64 v87, v[60:61], v[62:63] offset0:42 offset1:49
	v_fma_f64 v[60:61], v[78:79], s[6:7], -v[70:71]
	v_fma_f64 v[62:63], v[80:81], s[8:9], -v[110:111]
	v_add_f64 v[60:61], v[168:169], v[60:61]
	v_add_f64 v[60:61], v[62:63], v[60:61]
	v_fma_f64 v[62:63], v[78:79], s[16:17], -v[128:129]
	v_add_f64 v[62:63], v[168:169], v[62:63]
	v_add_f64 v[62:63], v[64:65], v[62:63]
	v_fma_f64 v[64:65], v[92:93], s[14:15], -v[140:141]
	v_add_f64 v[60:61], v[64:65], v[60:61]
	v_fma_f64 v[64:65], v[92:93], s[6:7], -v[144:145]
	;; [unrolled: 2-line block ×6, first 2 shown]
	v_add_f64 v[62:63], v[64:65], v[62:63]
	v_add_f64 v[64:65], v[132:133], -v[136:137]
	ds_write2_b64 v87, v[62:63], v[60:61] offset0:56 offset1:63
	v_fma_f64 v[60:61], v[78:79], s[34:35], -v[82:83]
	v_fma_f64 v[62:63], v[80:81], s[6:7], -v[88:89]
	v_add_f64 v[60:61], v[168:169], v[60:61]
	v_add_f64 v[60:61], v[62:63], v[60:61]
	v_fma_f64 v[62:63], v[92:93], s[16:17], -v[100:101]
	v_mul_f64 v[92:93], v[64:65], s[22:23]
	v_mul_f64 v[100:101], v[66:67], s[18:19]
	v_add_f64 v[60:61], v[62:63], v[60:61]
	v_fma_f64 v[62:63], v[76:77], s[8:9], -v[74:75]
	v_add_f64 v[60:61], v[62:63], v[60:61]
	v_fma_f64 v[62:63], v[102:103], s[14:15], -v[108:109]
	v_add_f64 v[60:61], v[62:63], v[60:61]
	ds_write_b64 v87, v[60:61] offset:560
	s_clause 0x9
	buffer_load_dword v60, off, s[40:43], 0 offset:252
	buffer_load_dword v61, off, s[40:43], 0 offset:256
	;; [unrolled: 1-line block ×10, first 2 shown]
	v_add_f64 v[87:88], v[124:125], -v[114:115]
	s_waitcnt vmcnt(8)
	v_add_f64 v[60:61], v[60:61], -v[94:95]
	s_waitcnt vmcnt(6)
	;; [unrolled: 2-line block ×3, first 2 shown]
	v_add_f64 v[68:69], v[166:167], v[70:71]
	v_add_f64 v[70:71], v[70:71], v[90:91]
	v_mul_f64 v[76:77], v[60:61], s[36:37]
	v_mul_f64 v[80:81], v[62:63], s[20:21]
	s_waitcnt vmcnt(2)
	v_add_f64 v[68:69], v[68:69], v[74:75]
	v_add_f64 v[74:75], v[74:75], v[126:127]
	v_fma_f64 v[78:79], v[70:71], s[34:35], v[76:77]
	s_waitcnt vmcnt(0)
	v_add_f64 v[68:69], v[68:69], v[85:86]
	v_fma_f64 v[82:83], v[74:75], s[6:7], v[80:81]
	v_add_f64 v[85:86], v[85:86], v[118:119]
	v_add_f64 v[78:79], v[166:167], v[78:79]
	v_fma_f64 v[94:95], v[85:86], s[16:17], v[92:93]
	v_add_f64 v[78:79], v[82:83], v[78:79]
	s_clause 0x1
	buffer_load_dword v82, off, s[40:43], 0 offset:260
	buffer_load_dword v83, off, s[40:43], 0 offset:264
	v_add_f64 v[78:79], v[94:95], v[78:79]
	v_add_f64 v[94:95], v[122:123], v[112:113]
	s_waitcnt vmcnt(0)
	v_add_f64 v[68:69], v[68:69], v[82:83]
	v_add_f64 v[82:83], v[82:83], v[116:117]
	;; [unrolled: 1-line block ×3, first 2 shown]
	v_fma_f64 v[102:103], v[82:83], s[8:9], v[100:101]
	v_add_f64 v[68:69], v[68:69], v[112:113]
	v_add_f64 v[78:79], v[102:103], v[78:79]
	v_mul_f64 v[112:113], v[62:63], s[26:27]
	v_add_f64 v[68:69], v[68:69], v[116:117]
	v_fma_f64 v[114:115], v[74:75], s[14:15], v[112:113]
	v_add_f64 v[68:69], v[68:69], v[118:119]
	v_add_f64 v[68:69], v[68:69], v[126:127]
	;; [unrolled: 1-line block ×3, first 2 shown]
	v_mul_f64 v[89:90], v[87:88], s[24:25]
	v_fma_f64 v[102:103], v[94:95], s[14:15], v[89:90]
	v_add_f64 v[78:79], v[102:103], v[78:79]
	v_mul_f64 v[102:103], v[62:63], s[18:19]
	ds_write2_b64 v84, v[68:69], v[78:79] offset1:7
	v_mul_f64 v[68:69], v[60:61], s[20:21]
	v_fma_f64 v[108:109], v[74:75], s[8:9], v[102:103]
	v_fma_f64 v[78:79], v[70:71], s[6:7], v[68:69]
	v_add_f64 v[78:79], v[166:167], v[78:79]
	v_add_f64 v[78:79], v[108:109], v[78:79]
	v_mul_f64 v[108:109], v[60:61], s[22:23]
	v_fma_f64 v[110:111], v[70:71], s[16:17], v[108:109]
	v_add_f64 v[110:111], v[166:167], v[110:111]
	v_add_f64 v[110:111], v[114:115], v[110:111]
	v_mul_f64 v[114:115], v[64:65], s[26:27]
	v_fma_f64 v[116:117], v[85:86], s[14:15], v[114:115]
	v_add_f64 v[78:79], v[116:117], v[78:79]
	v_mul_f64 v[116:117], v[64:65], s[28:29]
	v_fma_f64 v[118:119], v[85:86], s[6:7], v[116:117]
	;; [unrolled: 3-line block ×6, first 2 shown]
	v_add_f64 v[110:111], v[126:127], v[110:111]
	v_mul_f64 v[126:127], v[62:63], s[30:31]
	v_mul_f64 v[62:63], v[62:63], s[38:39]
	ds_write2_b64 v84, v[78:79], v[110:111] offset0:14 offset1:21
	v_mul_f64 v[78:79], v[60:61], s[18:19]
	v_fma_f64 v[128:129], v[74:75], s[16:17], v[126:127]
	v_mul_f64 v[60:61], v[60:61], s[24:25]
	v_fma_f64 v[130:131], v[74:75], s[34:35], v[62:63]
	v_fma_f64 v[62:63], v[74:75], s[34:35], -v[62:63]
	v_fma_f64 v[110:111], v[70:71], s[8:9], v[78:79]
	v_fma_f64 v[78:79], v[70:71], s[8:9], -v[78:79]
	v_add_f64 v[110:111], v[166:167], v[110:111]
	v_add_f64 v[78:79], v[166:167], v[78:79]
	;; [unrolled: 1-line block ×3, first 2 shown]
	v_fma_f64 v[128:129], v[70:71], s[14:15], v[60:61]
	v_fma_f64 v[60:61], v[70:71], s[14:15], -v[60:61]
	v_add_f64 v[128:129], v[166:167], v[128:129]
	v_add_f64 v[60:61], v[166:167], v[60:61]
	;; [unrolled: 1-line block ×3, first 2 shown]
	v_mul_f64 v[130:131], v[64:65], s[36:37]
	v_mul_f64 v[64:65], v[64:65], s[18:19]
	v_add_f64 v[60:61], v[62:63], v[60:61]
	v_fma_f64 v[132:133], v[85:86], s[34:35], v[130:131]
	v_fma_f64 v[62:63], v[85:86], s[34:35], -v[130:131]
	v_add_f64 v[110:111], v[132:133], v[110:111]
	v_fma_f64 v[132:133], v[85:86], s[8:9], v[64:65]
	v_fma_f64 v[64:65], v[85:86], s[8:9], -v[64:65]
	v_add_f64 v[128:129], v[132:133], v[128:129]
	v_mul_f64 v[132:133], v[66:67], s[24:25]
	v_mul_f64 v[66:67], v[66:67], s[28:29]
	v_add_f64 v[60:61], v[64:65], v[60:61]
	v_fma_f64 v[134:135], v[82:83], s[14:15], v[132:133]
	v_fma_f64 v[64:65], v[82:83], s[14:15], -v[132:133]
	v_add_f64 v[110:111], v[134:135], v[110:111]
	v_fma_f64 v[134:135], v[82:83], s[6:7], v[66:67]
	v_add_f64 v[128:129], v[134:135], v[128:129]
	v_mul_f64 v[134:135], v[87:88], s[28:29]
	v_mul_f64 v[87:88], v[87:88], s[22:23]
	v_fma_f64 v[136:137], v[94:95], s[6:7], v[134:135]
	v_add_f64 v[110:111], v[136:137], v[110:111]
	v_fma_f64 v[136:137], v[94:95], s[16:17], v[87:88]
	v_add_f64 v[128:129], v[136:137], v[128:129]
	ds_write2_b64 v84, v[110:111], v[128:129] offset0:28 offset1:35
	v_fma_f64 v[110:111], v[74:75], s[16:17], -v[126:127]
	v_add_f64 v[78:79], v[110:111], v[78:79]
	v_add_f64 v[62:63], v[62:63], v[78:79]
	v_add_f64 v[62:63], v[64:65], v[62:63]
	v_fma_f64 v[64:65], v[82:83], s[6:7], -v[66:67]
	v_add_f64 v[60:61], v[64:65], v[60:61]
	v_fma_f64 v[64:65], v[94:95], s[6:7], -v[134:135]
	v_add_f64 v[62:63], v[64:65], v[62:63]
	v_fma_f64 v[64:65], v[94:95], s[16:17], -v[87:88]
	v_add_f64 v[60:61], v[64:65], v[60:61]
	v_fma_f64 v[64:65], v[74:75], s[14:15], -v[112:113]
	ds_write2_b64 v84, v[60:61], v[62:63] offset0:42 offset1:49
	v_fma_f64 v[60:61], v[70:71], s[6:7], -v[68:69]
	v_fma_f64 v[62:63], v[74:75], s[8:9], -v[102:103]
	v_add_f64 v[60:61], v[166:167], v[60:61]
	v_add_f64 v[60:61], v[62:63], v[60:61]
	v_fma_f64 v[62:63], v[70:71], s[16:17], -v[108:109]
	v_add_f64 v[62:63], v[166:167], v[62:63]
	v_add_f64 v[62:63], v[64:65], v[62:63]
	v_fma_f64 v[64:65], v[85:86], s[14:15], -v[114:115]
	v_add_f64 v[60:61], v[64:65], v[60:61]
	v_fma_f64 v[64:65], v[85:86], s[6:7], -v[116:117]
	;; [unrolled: 2-line block ×6, first 2 shown]
	v_add_f64 v[62:63], v[64:65], v[62:63]
	ds_write2_b64 v84, v[62:63], v[60:61] offset0:56 offset1:63
	v_fma_f64 v[60:61], v[70:71], s[34:35], -v[76:77]
	v_fma_f64 v[62:63], v[74:75], s[6:7], -v[80:81]
	v_add_f64 v[60:61], v[166:167], v[60:61]
	v_add_f64 v[60:61], v[62:63], v[60:61]
	v_fma_f64 v[62:63], v[85:86], s[16:17], -v[92:93]
	v_add_f64 v[60:61], v[62:63], v[60:61]
	v_fma_f64 v[62:63], v[82:83], s[8:9], -v[100:101]
	;; [unrolled: 2-line block ×3, first 2 shown]
	v_add_f64 v[60:61], v[62:63], v[60:61]
	ds_write_b64 v84, v[60:61] offset:560
	s_and_saveexec_b32 s30, s0
	s_cbranch_execz .LBB0_21
; %bb.20:
	s_clause 0x9
	buffer_load_dword v62, off, s[40:43], 0 offset:204
	buffer_load_dword v63, off, s[40:43], 0 offset:208
	;; [unrolled: 1-line block ×10, first 2 shown]
	s_mov_b32 s20, 0xf8bb580b
	s_mov_b32 s21, 0xbfe14ced
	;; [unrolled: 1-line block ×22, first 2 shown]
	s_waitcnt vmcnt(8)
	v_add_f64 v[60:61], v[164:165], v[62:63]
	s_waitcnt vmcnt(6)
	v_add_f64 v[62:63], v[62:63], v[158:159]
	s_waitcnt vmcnt(2)
	v_add_f64 v[64:65], v[64:65], -v[66:67]
	s_clause 0x5
	buffer_load_dword v66, off, s[40:43], 0 offset:172
	buffer_load_dword v67, off, s[40:43], 0 offset:176
	;; [unrolled: 1-line block ×6, first 2 shown]
	s_waitcnt vmcnt(6)
	v_add_f64 v[60:61], v[60:61], v[68:69]
	v_mul_f64 v[86:87], v[64:65], s[14:15]
	v_mul_f64 v[88:89], v[64:65], s[22:23]
	;; [unrolled: 1-line block ×3, first 2 shown]
	v_fma_f64 v[134:135], v[62:63], s[6:7], v[86:87]
	v_fma_f64 v[86:87], v[62:63], s[6:7], -v[86:87]
	v_fma_f64 v[136:137], v[62:63], s[8:9], v[88:89]
	v_fma_f64 v[138:139], v[62:63], s[16:17], v[90:91]
	v_fma_f64 v[90:91], v[62:63], s[16:17], -v[90:91]
	v_fma_f64 v[88:89], v[62:63], s[8:9], -v[88:89]
	v_add_f64 v[86:87], v[164:165], v[86:87]
	v_add_f64 v[90:91], v[164:165], v[90:91]
	v_add_f64 v[88:89], v[164:165], v[88:89]
	s_waitcnt vmcnt(2)
	v_add_f64 v[66:67], v[66:67], -v[70:71]
	s_clause 0x3
	buffer_load_dword v70, off, s[40:43], 0 offset:156
	buffer_load_dword v71, off, s[40:43], 0 offset:160
	;; [unrolled: 1-line block ×4, first 2 shown]
	s_waitcnt vmcnt(4)
	v_add_f64 v[68:69], v[68:69], v[160:161]
	v_mul_f64 v[92:93], v[66:67], s[14:15]
	v_mul_f64 v[94:95], v[66:67], s[24:25]
	;; [unrolled: 1-line block ×5, first 2 shown]
	s_mov_b32 s15, 0x3fed1bb4
	v_fma_f64 v[144:145], v[68:69], s[18:19], v[100:101]
	v_fma_f64 v[100:101], v[68:69], s[18:19], -v[100:101]
	v_fma_f64 v[146:147], v[68:69], s[8:9], v[102:103]
	v_fma_f64 v[102:103], v[68:69], s[8:9], -v[102:103]
	;; [unrolled: 2-line block ×3, first 2 shown]
	v_add_f64 v[90:91], v[102:103], v[90:91]
	s_waitcnt vmcnt(0)
	v_add_f64 v[70:71], v[70:71], -v[74:75]
	s_clause 0x13
	buffer_load_dword v74, off, s[40:43], 0 offset:148
	buffer_load_dword v75, off, s[40:43], 0 offset:152
	buffer_load_dword v162, off, s[40:43], 0 offset:76
	buffer_load_dword v163, off, s[40:43], 0 offset:80
	buffer_load_dword v166, off, s[40:43], 0 offset:84
	buffer_load_dword v167, off, s[40:43], 0 offset:88
	buffer_load_dword v110, off, s[40:43], 0 offset:108
	buffer_load_dword v111, off, s[40:43], 0 offset:112
	buffer_load_dword v78, off, s[40:43], 0 offset:132
	buffer_load_dword v79, off, s[40:43], 0 offset:136
	buffer_load_dword v80, off, s[40:43], 0 offset:140
	buffer_load_dword v81, off, s[40:43], 0 offset:144
	buffer_load_dword v150, off, s[40:43], 0 offset:92
	buffer_load_dword v151, off, s[40:43], 0 offset:96
	buffer_load_dword v142, off, s[40:43], 0 offset:100
	buffer_load_dword v143, off, s[40:43], 0 offset:104
	buffer_load_dword v82, off, s[40:43], 0 offset:116
	buffer_load_dword v83, off, s[40:43], 0 offset:120
	buffer_load_dword v84, off, s[40:43], 0 offset:124
	buffer_load_dword v85, off, s[40:43], 0 offset:128
	v_mul_f64 v[108:109], v[70:71], s[22:23]
	v_mul_f64 v[112:113], v[70:71], s[20:21]
	;; [unrolled: 1-line block ×3, first 2 shown]
	s_waitcnt vmcnt(18)
	v_add_f64 v[60:61], v[60:61], v[74:75]
	s_waitcnt vmcnt(16)
	v_add_f64 v[74:75], v[74:75], v[162:163]
	;; [unrolled: 2-line block ×3, first 2 shown]
	s_waitcnt vmcnt(8)
	v_add_f64 v[78:79], v[78:79], -v[80:81]
	s_waitcnt vmcnt(4)
	v_add_f64 v[80:81], v[142:143], v[150:151]
	s_waitcnt vmcnt(0)
	v_add_f64 v[82:83], v[82:83], -v[84:85]
	v_mul_f64 v[84:85], v[64:65], s[20:21]
	v_mul_f64 v[64:65], v[64:65], s[26:27]
	v_add_f64 v[60:61], v[60:61], v[110:111]
	v_mul_f64 v[110:111], v[70:71], s[28:29]
	v_mul_f64 v[70:71], v[70:71], s[14:15]
	;; [unrolled: 1-line block ×5, first 2 shown]
	v_fma_f64 v[132:133], v[62:63], s[0:1], v[84:85]
	v_fma_f64 v[140:141], v[62:63], s[18:19], v[64:65]
	v_fma_f64 v[64:65], v[62:63], s[18:19], -v[64:65]
	v_fma_f64 v[62:63], v[62:63], s[0:1], -v[84:85]
	v_fma_f64 v[84:85], v[68:69], s[6:7], v[92:93]
	v_fma_f64 v[92:93], v[68:69], s[6:7], -v[92:93]
	v_mul_f64 v[122:123], v[78:79], s[26:27]
	v_mul_f64 v[78:79], v[78:79], s[14:15]
	v_fma_f64 v[152:153], v[74:75], s[0:1], v[112:113]
	v_fma_f64 v[112:113], v[74:75], s[0:1], -v[112:113]
	v_fma_f64 v[154:155], v[74:75], s[16:17], v[114:115]
	v_fma_f64 v[114:115], v[74:75], s[16:17], -v[114:115]
	v_mul_f64 v[124:125], v[82:83], s[26:27]
	v_mul_f64 v[126:127], v[82:83], s[36:37]
	;; [unrolled: 1-line block ×4, first 2 shown]
	v_add_f64 v[60:61], v[60:61], v[142:143]
	v_fma_f64 v[142:143], v[68:69], s[16:17], v[94:95]
	v_fma_f64 v[94:95], v[68:69], s[16:17], -v[94:95]
	v_fma_f64 v[156:157], v[74:75], s[6:7], v[70:71]
	v_fma_f64 v[70:71], v[74:75], s[6:7], -v[70:71]
	v_mul_f64 v[82:83], v[82:83], s[14:15]
	v_add_f64 v[68:69], v[164:165], v[132:133]
	v_add_f64 v[132:133], v[164:165], v[134:135]
	;; [unrolled: 1-line block ×7, first 2 shown]
	v_fma_f64 v[140:141], v[74:75], s[8:9], v[108:109]
	v_fma_f64 v[108:109], v[74:75], s[8:9], -v[108:109]
	v_add_f64 v[90:91], v[112:113], v[90:91]
	v_fma_f64 v[112:113], v[80:81], s[16:17], v[128:129]
	v_add_f64 v[60:61], v[60:61], v[150:151]
	v_fma_f64 v[150:151], v[74:75], s[18:19], v[110:111]
	v_fma_f64 v[110:111], v[74:75], s[18:19], -v[110:111]
	v_add_f64 v[68:69], v[84:85], v[68:69]
	v_add_f64 v[74:75], v[142:143], v[132:133]
	;; [unrolled: 1-line block ×9, first 2 shown]
	v_fma_f64 v[88:89], v[76:77], s[16:17], v[116:117]
	v_fma_f64 v[92:93], v[76:77], s[16:17], -v[116:117]
	v_fma_f64 v[100:101], v[76:77], s[8:9], v[118:119]
	v_fma_f64 v[116:117], v[76:77], s[8:9], -v[118:119]
	;; [unrolled: 2-line block ×3, first 2 shown]
	v_fma_f64 v[132:133], v[76:77], s[18:19], v[122:123]
	v_add_f64 v[60:61], v[60:61], v[166:167]
	v_fma_f64 v[122:123], v[76:77], s[18:19], -v[122:123]
	v_fma_f64 v[134:135], v[76:77], s[6:7], v[78:79]
	v_fma_f64 v[76:77], v[76:77], s[6:7], -v[78:79]
	v_add_f64 v[68:69], v[140:141], v[68:69]
	v_add_f64 v[74:75], v[150:151], v[74:75]
	;; [unrolled: 1-line block ×9, first 2 shown]
	v_fma_f64 v[70:71], v[80:81], s[18:19], v[124:125]
	v_fma_f64 v[102:103], v[80:81], s[18:19], -v[124:125]
	v_fma_f64 v[108:109], v[80:81], s[0:1], v[126:127]
	v_fma_f64 v[110:111], v[80:81], s[0:1], -v[126:127]
	v_fma_f64 v[114:115], v[80:81], s[16:17], -v[128:129]
	v_fma_f64 v[124:125], v[80:81], s[8:9], v[130:131]
	v_fma_f64 v[126:127], v[80:81], s[8:9], -v[130:131]
	v_add_f64 v[60:61], v[60:61], v[162:163]
	v_fma_f64 v[128:129], v[80:81], s[6:7], v[82:83]
	v_fma_f64 v[80:81], v[80:81], s[6:7], -v[82:83]
	v_add_f64 v[68:69], v[88:89], v[68:69]
	v_add_f64 v[74:75], v[100:101], v[74:75]
	;; [unrolled: 1-line block ×21, first 2 shown]
	v_mov_b32_e32 v84, 0x268
	v_mov_b32_e32 v85, 3
	v_mul_u32_u24_sdwa v72, v72, v84 dst_sel:DWORD dst_unused:UNUSED_PAD src0_sel:WORD_0 src1_sel:DWORD
	v_add_f64 v[60:61], v[60:61], v[158:159]
	v_lshlrev_b32_sdwa v73, v85, v73 dst_sel:DWORD dst_unused:UNUSED_PAD src0_sel:DWORD src1_sel:BYTE_0
	v_add3_u32 v72, 0, v72, v73
	ds_write2_b64 v72, v[70:71], v[76:77] offset0:14 offset1:21
	ds_write2_b64 v72, v[78:79], v[82:83] offset0:28 offset1:35
	;; [unrolled: 1-line block ×4, first 2 shown]
	ds_write2_b64 v72, v[60:61], v[68:69] offset1:7
	ds_write_b64 v72, v[62:63] offset:560
.LBB0_21:
	s_or_b32 exec_lo, exec_lo, s30
	v_lshlrev_b32_e32 v100, 2, v238
	v_mov_b32_e32 v101, 0
	s_waitcnt lgkmcnt(0)
	s_barrier
	buffer_gl0_inv
	buffer_load_dword v229, off, s[40:43], 0 offset:8 ; 4-byte Folded Reload
	v_lshlrev_b64 v[60:61], 4, v[100:101]
	ds_read2_b64 v[64:67], v201 offset0:129 offset1:184
	v_add_nc_u32_e32 v214, 0x113, v238
	s_mov_b32 s8, 0x134454ff
	s_mov_b32 s9, 0x3fee6f0e
	;; [unrolled: 1-line block ×3, first 2 shown]
	v_add_co_u32 v116, s0, s12, v60
	v_add_co_ci_u32_e64 v117, s0, s13, v61, s0
	v_cmp_gt_u32_e64 s0, 22, v238
	s_mov_b32 s7, 0x3fe2cf23
	s_mov_b32 s14, 0x372fe950
	s_clause 0x1
	global_load_dwordx4 v[60:63], v[116:117], off offset:1120
	global_load_dwordx4 v[121:124], v[116:117], off offset:1136
	s_mov_b32 s15, 0x3fd3c6ef
	s_mov_b32 s19, 0xbfee6f0e
	;; [unrolled: 1-line block ×5, first 2 shown]
	s_waitcnt vmcnt(1) lgkmcnt(0)
	v_mul_f64 v[68:69], v[64:65], v[62:63]
	v_fma_f64 v[118:119], v[56:57], v[60:61], -v[68:69]
	v_mul_f64 v[56:57], v[56:57], v[62:63]
	v_fma_f64 v[72:73], v[64:65], v[60:61], v[56:57]
	v_subrev_nc_u32_e32 v56, 22, v238
	v_cndmask_b32_e64 v120, v56, v229, s0
	v_lshlrev_b32_e32 v100, 2, v120
	v_lshlrev_b64 v[56:57], 4, v[100:101]
	v_mov_b32_e32 v100, 6
	v_add_co_u32 v82, s0, s12, v56
	v_add_co_ci_u32_e64 v83, s0, s13, v57, s0
	s_clause 0x1
	global_load_dwordx4 v[60:63], v[82:83], off offset:1120
	global_load_dwordx4 v[74:77], v[82:83], off offset:1136
	ds_read2_b64 v[86:89], v200 offset0:131 offset1:186
	v_cmp_lt_u32_e64 s0, 21, v238
	buffer_load_dword v230, off, s[40:43], 0 offset:24 ; 4-byte Folded Reload
	global_load_dwordx4 v[182:185], v[116:117], off offset:1168
	s_waitcnt vmcnt(3)
	v_mul_f64 v[56:57], v[66:67], v[62:63]
	v_fma_f64 v[70:71], v[58:59], v[60:61], -v[56:57]
	v_mul_f64 v[56:57], v[58:59], v[62:63]
	ds_read2_b64 v[62:65], v204 offset0:57 offset1:112
	v_fma_f64 v[68:69], v[66:67], v[60:61], v[56:57]
	buffer_load_dword v56, off, s[40:43], 0 offset:44 ; 4-byte Folded Reload
	s_waitcnt vmcnt(0)
	v_mul_lo_u16 v56, 0xd5, v56
	v_lshrrev_b16 v56, 14, v56
	v_mul_lo_u16 v57, 0x4d, v56
	v_sub_nc_u16 v57, v230, v57
	v_lshlrev_b32_sdwa v90, v100, v57 dst_sel:DWORD dst_unused:UNUSED_PAD src0_sel:DWORD src1_sel:BYTE_0
	s_clause 0x1
	global_load_dwordx4 v[58:61], v90, s[12:13] offset:1136
	global_load_dwordx4 v[78:81], v90, s[12:13] offset:1120
	s_waitcnt vmcnt(1) lgkmcnt(0)
	v_mul_f64 v[66:67], v[64:65], v[60:61]
	v_fma_f64 v[66:67], v[54:55], v[58:59], -v[66:67]
	v_mul_f64 v[54:55], v[54:55], v[60:61]
	v_fma_f64 v[64:65], v[64:65], v[58:59], v[54:55]
	global_load_dwordx4 v[58:61], v[116:117], off offset:1152
	v_mul_f64 v[54:55], v[62:63], v[76:77]
	v_fma_f64 v[84:85], v[52:53], v[74:75], -v[54:55]
	v_mul_f64 v[52:53], v[52:53], v[76:77]
	v_fma_f64 v[74:75], v[62:63], v[74:75], v[52:53]
	s_waitcnt vmcnt(0)
	v_mul_f64 v[52:53], v[86:87], v[60:61]
	v_fma_f64 v[52:53], v[48:49], v[58:59], -v[52:53]
	v_mul_f64 v[48:49], v[48:49], v[60:61]
	v_fma_f64 v[180:181], v[86:87], v[58:59], v[48:49]
	s_clause 0x1
	global_load_dwordx4 v[58:61], v[82:83], off offset:1152
	global_load_dwordx4 v[92:95], v[82:83], off offset:1168
	s_waitcnt vmcnt(1)
	v_mul_f64 v[48:49], v[88:89], v[60:61]
	v_fma_f64 v[170:171], v[50:51], v[58:59], -v[48:49]
	v_mul_f64 v[48:49], v[50:51], v[60:61]
	v_fma_f64 v[154:155], v[88:89], v[58:59], v[48:49]
	s_clause 0x1
	global_load_dwordx4 v[48:51], v90, s[12:13] offset:1168
	global_load_dwordx4 v[58:61], v90, s[12:13] offset:1152
	ds_read2_b64 v[86:89], v205 offset0:59 offset1:114
	buffer_load_dword v231, off, s[40:43], 0 offset:28 ; 4-byte Folded Reload
	s_waitcnt vmcnt(2) lgkmcnt(0)
	v_mul_f64 v[54:55], v[88:89], v[50:51]
	v_fma_f64 v[134:135], v[46:47], v[48:49], -v[54:55]
	v_mul_f64 v[46:47], v[46:47], v[50:51]
	v_fma_f64 v[90:91], v[88:89], v[48:49], v[46:47]
	v_mul_f64 v[46:47], v[86:87], v[94:95]
	v_fma_f64 v[178:179], v[44:45], v[92:93], -v[46:47]
	v_mul_f64 v[44:45], v[44:45], v[94:95]
	v_fma_f64 v[166:167], v[86:87], v[92:93], v[44:45]
	ds_read2_b64 v[44:47], v206 offset0:111 offset1:166
	s_waitcnt lgkmcnt(0)
	v_mul_f64 v[48:49], v[44:45], v[80:81]
	v_fma_f64 v[150:151], v[40:41], v[78:79], -v[48:49]
	v_mul_f64 v[40:41], v[40:41], v[80:81]
	v_fma_f64 v[130:131], v[44:45], v[78:79], v[40:41]
	buffer_load_dword v40, off, s[40:43], 0 offset:52 ; 4-byte Folded Reload
	s_waitcnt vmcnt(0)
	v_mul_lo_u16 v40, 0xd5, v40
	v_lshrrev_b16 v40, 14, v40
	v_mul_lo_u16 v40, 0x4d, v40
	v_sub_nc_u16 v40, v231, v40
	v_and_b32_e32 v40, 0xff, v40
	v_lshlrev_b32_e32 v54, 6, v40
	s_clause 0x1
	global_load_dwordx4 v[48:51], v54, s[12:13] offset:1120
	global_load_dwordx4 v[76:79], v54, s[12:13] offset:1136
	v_lshl_add_u32 v223, v40, 3, 0
	v_add_nc_u32_e32 v224, 0x1800, v223
	s_waitcnt vmcnt(1)
	v_mul_f64 v[44:45], v[46:47], v[50:51]
	v_fma_f64 v[108:109], v[42:43], v[48:49], -v[44:45]
	v_mul_f64 v[41:42], v[42:43], v[50:51]
	v_fma_f64 v[80:81], v[46:47], v[48:49], v[41:42]
	ds_read2_b64 v[41:44], v207 offset0:113 offset1:168
	v_mov_b32_e32 v49, 0x1a99
	s_waitcnt lgkmcnt(0)
	v_mul_f64 v[45:46], v[41:42], v[60:61]
	v_fma_f64 v[174:175], v[36:37], v[58:59], -v[45:46]
	v_mul_f64 v[36:37], v[36:37], v[60:61]
	v_fma_f64 v[158:159], v[41:42], v[58:59], v[36:37]
	s_clause 0x1
	global_load_dwordx4 v[45:48], v54, s[12:13] offset:1152
	global_load_dwordx4 v[58:61], v54, s[12:13] offset:1168
	buffer_load_dword v232, off, s[40:43], 0 offset:32 ; 4-byte Folded Reload
	s_waitcnt vmcnt(2)
	v_mul_f64 v[36:37], v[43:44], v[47:48]
	v_fma_f64 v[136:137], v[38:39], v[45:46], -v[36:37]
	v_mul_f64 v[36:37], v[38:39], v[47:48]
	v_fma_f64 v[92:93], v[43:44], v[45:46], v[36:37]
	ds_read2_b64 v[36:39], v204 offset0:167 offset1:222
	s_waitcnt lgkmcnt(0)
	v_mul_f64 v[41:42], v[36:37], v[78:79]
	v_fma_f64 v[142:143], v[32:33], v[76:77], -v[41:42]
	v_mul_f64 v[32:33], v[32:33], v[78:79]
	v_fma_f64 v[128:129], v[36:37], v[76:77], v[32:33]
	s_waitcnt vmcnt(0)
	v_mul_u32_u24_sdwa v32, v232, v49 dst_sel:DWORD dst_unused:UNUSED_PAD src0_sel:WORD_0 src1_sel:DWORD
	v_lshrrev_b32_e32 v32, 19, v32
	v_mul_lo_u16 v33, 0x4d, v32
	v_sub_nc_u16 v33, v232, v33
	v_lshlrev_b32_sdwa v50, v100, v33 dst_sel:DWORD dst_unused:UNUSED_PAD src0_sel:DWORD src1_sel:WORD_0
	s_clause 0x1
	global_load_dwordx4 v[41:44], v50, s[12:13] offset:1136
	global_load_dwordx4 v[45:48], v50, s[12:13] offset:1120
	s_waitcnt vmcnt(1)
	v_mul_f64 v[36:37], v[38:39], v[43:44]
	v_fma_f64 v[94:95], v[34:35], v[41:42], -v[36:37]
	v_mul_f64 v[34:35], v[34:35], v[43:44]
	v_fma_f64 v[78:79], v[38:39], v[41:42], v[34:35]
	ds_read2_b64 v[34:37], v205 offset0:169 offset1:224
	s_waitcnt lgkmcnt(0)
	v_mul_f64 v[38:39], v[34:35], v[60:61]
	v_fma_f64 v[168:169], v[28:29], v[58:59], -v[38:39]
	v_mul_f64 v[28:29], v[28:29], v[60:61]
	v_fma_f64 v[152:153], v[34:35], v[58:59], v[28:29]
	s_clause 0x1
	global_load_dwordx4 v[41:44], v50, s[12:13] offset:1168
	global_load_dwordx4 v[58:61], v50, s[12:13] offset:1152
	s_waitcnt vmcnt(1)
	v_mul_f64 v[28:29], v[36:37], v[43:44]
	v_fma_f64 v[138:139], v[30:31], v[41:42], -v[28:29]
	v_mul_f64 v[28:29], v[30:31], v[43:44]
	v_fma_f64 v[86:87], v[36:37], v[41:42], v[28:29]
	ds_read2_b64 v[28:31], v208 offset0:93 offset1:148
	s_waitcnt lgkmcnt(0)
	v_mul_f64 v[34:35], v[28:29], v[47:48]
	v_fma_f64 v[144:145], v[24:25], v[45:46], -v[34:35]
	v_mul_f64 v[24:25], v[24:25], v[47:48]
	v_fma_f64 v[112:113], v[28:29], v[45:46], v[24:25]
	v_mul_u32_u24_sdwa v24, v214, v49 dst_sel:DWORD dst_unused:UNUSED_PAD src0_sel:WORD_0 src1_sel:DWORD
	v_lshrrev_b32_e32 v24, 19, v24
	v_mul_lo_u16 v25, 0x4d, v24
	v_sub_nc_u16 v25, v214, v25
	v_lshlrev_b32_sdwa v38, v100, v25 dst_sel:DWORD dst_unused:UNUSED_PAD src0_sel:DWORD src1_sel:WORD_0
	s_clause 0x1
	global_load_dwordx4 v[34:37], v38, s[12:13] offset:1120
	global_load_dwordx4 v[41:44], v38, s[12:13] offset:1136
	v_add_nc_u32_e32 v100, 0x14a, v238
	s_waitcnt vmcnt(1)
	v_mul_f64 v[28:29], v[30:31], v[36:37]
	v_fma_f64 v[88:89], v[26:27], v[34:35], -v[28:29]
	v_mul_f64 v[26:27], v[26:27], v[36:37]
	v_fma_f64 v[76:77], v[30:31], v[34:35], v[26:27]
	ds_read2_b64 v[26:29], v209 offset0:95 offset1:150
	s_clause 0x1
	global_load_dwordx4 v[34:37], v38, s[12:13] offset:1152
	global_load_dwordx4 v[45:48], v38, s[12:13] offset:1168
	s_waitcnt lgkmcnt(0)
	v_mul_f64 v[30:31], v[26:27], v[60:61]
	v_fma_f64 v[164:165], v[20:21], v[58:59], -v[30:31]
	v_mul_f64 v[20:21], v[20:21], v[60:61]
	v_fma_f64 v[148:149], v[26:27], v[58:59], v[20:21]
	s_waitcnt vmcnt(1)
	v_mul_f64 v[20:21], v[28:29], v[36:37]
	v_fma_f64 v[146:147], v[22:23], v[34:35], -v[20:21]
	v_mul_f64 v[20:21], v[22:23], v[36:37]
	v_fma_f64 v[114:115], v[28:29], v[34:35], v[20:21]
	ds_read2_b64 v[26:29], v202 offset0:75 offset1:130
	s_waitcnt lgkmcnt(0)
	v_mul_f64 v[20:21], v[28:29], v[123:124]
	v_fma_f64 v[20:21], v[14:15], v[121:122], -v[20:21]
	v_mul_f64 v[14:15], v[14:15], v[123:124]
	v_fma_f64 v[186:187], v[28:29], v[121:122], v[14:15]
	v_mul_u32_u24_sdwa v14, v100, v49 dst_sel:DWORD dst_unused:UNUSED_PAD src0_sel:WORD_0 src1_sel:DWORD
	v_lshrrev_b32_e32 v14, 19, v14
	v_mul_lo_u16 v14, 0x4d, v14
	v_sub_nc_u16 v14, v100, v14
	v_and_b32_e32 v14, 0xffff, v14
	v_lshlrev_b32_e32 v38, 6, v14
	s_clause 0x1
	global_load_dwordx4 v[28:31], v38, s[12:13] offset:1120
	global_load_dwordx4 v[34:37], v38, s[12:13] offset:1136
	v_lshl_add_u32 v227, v14, 3, 0
	v_add_nc_u32_e32 v228, 0x3000, v227
	s_waitcnt vmcnt(1)
	v_mul_f64 v[22:23], v[26:27], v[30:31]
	v_fma_f64 v[110:111], v[12:13], v[28:29], -v[22:23]
	v_mul_f64 v[12:13], v[12:13], v[30:31]
	v_fma_f64 v[82:83], v[26:27], v[28:29], v[12:13]
	ds_read2_b64 v[26:29], v200 offset0:21 offset1:76
	s_waitcnt lgkmcnt(0)
	v_mul_f64 v[12:13], v[26:27], v[43:44]
	v_fma_f64 v[176:177], v[16:17], v[41:42], -v[12:13]
	v_mul_f64 v[12:13], v[16:17], v[43:44]
	v_fma_f64 v[162:163], v[26:27], v[41:42], v[12:13]
	s_waitcnt vmcnt(0)
	v_mul_f64 v[12:13], v[28:29], v[36:37]
	v_fma_f64 v[132:133], v[18:19], v[34:35], -v[12:13]
	v_mul_f64 v[12:13], v[18:19], v[36:37]
	ds_read2_b64 v[15:18], v203 offset0:77 offset1:132
	v_mov_b32_e32 v19, 3
	v_fma_f64 v[102:103], v[28:29], v[34:35], v[12:13]
	s_clause 0x1
	global_load_dwordx4 v[26:29], v38, s[12:13] offset:1152
	global_load_dwordx4 v[34:37], v38, s[12:13] offset:1168
	s_clause 0x2
	buffer_load_dword v236, off, s[40:43], 0 offset:36
	buffer_load_dword v234, off, s[40:43], 0 offset:40
	buffer_load_dword v233, off, s[40:43], 0
	s_waitcnt lgkmcnt(0)
	v_mul_f64 v[12:13], v[17:18], v[184:185]
	v_fma_f64 v[12:13], v[6:7], v[182:183], -v[12:13]
	v_mul_f64 v[6:7], v[6:7], v[184:185]
	v_add_f64 v[22:23], v[52:53], -v[12:13]
	v_fma_f64 v[188:189], v[17:18], v[182:183], v[6:7]
	s_waitcnt vmcnt(4)
	v_mul_f64 v[6:7], v[15:16], v[28:29]
	s_waitcnt vmcnt(2)
	ds_read_b64 v[196:197], v236
	s_waitcnt vmcnt(1)
	ds_read_b64 v[194:195], v234
	v_fma_f64 v[160:161], v[4:5], v[26:27], -v[6:7]
	v_mul_f64 v[4:5], v[4:5], v[28:29]
	v_fma_f64 v[140:141], v[15:16], v[26:27], v[4:5]
	ds_read2_b64 v[4:7], v210 offset0:23 offset1:78
	s_waitcnt vmcnt(0)
	ds_read_b64 v[192:193], v233
	ds_read_b64 v[198:199], v239
	buffer_load_dword v240, off, s[40:43], 0 offset:56 ; 4-byte Folded Reload
	s_waitcnt vmcnt(0)
	ds_read_b64 v[190:191], v240
	ds_read2_b64 v[60:63], v211 offset0:19 offset1:74
	s_waitcnt lgkmcnt(4)
	v_mul_f64 v[15:16], v[4:5], v[47:48]
	s_waitcnt lgkmcnt(0)
	s_barrier
	buffer_gl0_inv
	v_fma_f64 v[184:185], v[8:9], v[45:46], -v[15:16]
	v_mul_f64 v[8:9], v[8:9], v[47:48]
	v_add_f64 v[15:16], v[186:187], -v[180:181]
	v_fma_f64 v[182:183], v[4:5], v[45:46], v[8:9]
	v_mul_f64 v[4:5], v[6:7], v[36:37]
	v_add_f64 v[8:9], v[20:21], v[52:53]
	v_fma_f64 v[172:173], v[10:11], v[34:35], -v[4:5]
	v_mul_f64 v[4:5], v[10:11], v[36:37]
	v_fma_f64 v[8:9], v[8:9], -0.5, v[212:213]
	v_add_f64 v[10:11], v[72:73], -v[188:189]
	v_fma_f64 v[156:157], v[6:7], v[34:35], v[4:5]
	v_add_f64 v[4:5], v[118:119], -v[20:21]
	v_add_f64 v[6:7], v[12:13], -v[52:53]
	v_fma_f64 v[17:18], v[10:11], s[8:9], v[8:9]
	v_add_f64 v[4:5], v[4:5], v[6:7]
	v_add_f64 v[6:7], v[212:213], v[118:119]
	v_fma_f64 v[17:18], v[15:16], s[6:7], v[17:18]
	v_add_f64 v[6:7], v[6:7], v[20:21]
	v_fma_f64 v[17:18], v[4:5], s[14:15], v[17:18]
	v_add_f64 v[6:7], v[6:7], v[52:53]
	v_add_f64 v[6:7], v[6:7], v[12:13]
	ds_write2_b64 v239, v[6:7], v[17:18] offset1:77
	v_add_f64 v[6:7], v[118:119], v[12:13]
	v_add_f64 v[17:18], v[20:21], -v[118:119]
	v_fma_f64 v[6:7], v[6:7], -0.5, v[212:213]
	v_add_f64 v[17:18], v[17:18], v[22:23]
	v_fma_f64 v[22:23], v[15:16], s[18:19], v[6:7]
	v_fma_f64 v[6:7], v[15:16], s[8:9], v[6:7]
	;; [unrolled: 1-line block ×6, first 2 shown]
	ds_write2_b64 v239, v[22:23], v[6:7] offset0:154 offset1:231
	v_fma_f64 v[6:7], v[10:11], s[18:19], v[8:9]
	v_add_f64 v[8:9], v[178:179], -v[170:171]
	v_add_f64 v[10:11], v[68:69], -v[166:167]
	;; [unrolled: 1-line block ×3, first 2 shown]
	v_fma_f64 v[6:7], v[15:16], s[16:17], v[6:7]
	v_add_f64 v[15:16], v[74:75], -v[154:155]
	v_fma_f64 v[4:5], v[4:5], s[14:15], v[6:7]
	v_add_f64 v[6:7], v[70:71], -v[84:85]
	ds_write_b64 v239, v[4:5] offset:2464
	v_add_f64 v[6:7], v[6:7], v[8:9]
	v_add_f64 v[8:9], v[84:85], v[170:171]
	v_lshlrev_b32_e32 v4, 3, v120
	v_cndmask_b32_e64 v5, 0, 0xc08, s0
	v_add3_u32 v217, 0, v5, v4
	v_add_f64 v[4:5], v[106:107], v[70:71]
	v_fma_f64 v[8:9], v[8:9], -0.5, v[106:107]
	v_add_f64 v[4:5], v[4:5], v[84:85]
	v_fma_f64 v[17:18], v[10:11], s[8:9], v[8:9]
	v_add_f64 v[4:5], v[4:5], v[170:171]
	v_fma_f64 v[17:18], v[15:16], s[6:7], v[17:18]
	;; [unrolled: 2-line block ×3, first 2 shown]
	ds_write2_b64 v217, v[4:5], v[17:18] offset1:77
	v_add_f64 v[4:5], v[70:71], v[178:179]
	v_add_f64 v[17:18], v[84:85], -v[70:71]
	v_add_f64 v[70:71], v[70:71], -v[178:179]
	;; [unrolled: 1-line block ×3, first 2 shown]
	v_fma_f64 v[4:5], v[4:5], -0.5, v[106:107]
	v_add_f64 v[17:18], v[17:18], v[22:23]
	v_fma_f64 v[22:23], v[15:16], s[18:19], v[4:5]
	v_fma_f64 v[4:5], v[15:16], s[8:9], v[4:5]
	;; [unrolled: 1-line block ×6, first 2 shown]
	ds_write2_b64 v217, v[22:23], v[4:5] offset0:154 offset1:231
	v_fma_f64 v[4:5], v[10:11], s[18:19], v[8:9]
	v_add_f64 v[8:9], v[134:135], -v[174:175]
	v_add_f64 v[10:11], v[130:131], -v[90:91]
	;; [unrolled: 1-line block ×3, first 2 shown]
	v_fma_f64 v[4:5], v[15:16], s[16:17], v[4:5]
	v_add_f64 v[15:16], v[64:65], -v[158:159]
	v_fma_f64 v[4:5], v[6:7], s[14:15], v[4:5]
	v_add_f64 v[6:7], v[150:151], -v[66:67]
	ds_write_b64 v217, v[4:5] offset:2464
	v_add_f64 v[6:7], v[6:7], v[8:9]
	v_add_f64 v[8:9], v[66:67], v[174:175]
	v_mov_b32_e32 v4, 0xc08
	v_lshlrev_b32_sdwa v5, v19, v57 dst_sel:DWORD dst_unused:UNUSED_PAD src0_sel:DWORD src1_sel:BYTE_0
	v_mul_u32_u24_sdwa v4, v56, v4 dst_sel:DWORD dst_unused:UNUSED_PAD src0_sel:WORD_0 src1_sel:DWORD
	v_add3_u32 v222, 0, v4, v5
	v_add_f64 v[4:5], v[104:105], v[150:151]
	v_fma_f64 v[8:9], v[8:9], -0.5, v[104:105]
	v_add_f64 v[4:5], v[4:5], v[66:67]
	v_fma_f64 v[17:18], v[10:11], s[8:9], v[8:9]
	v_add_f64 v[4:5], v[4:5], v[174:175]
	v_fma_f64 v[17:18], v[15:16], s[6:7], v[17:18]
	;; [unrolled: 2-line block ×3, first 2 shown]
	ds_write2_b64 v222, v[4:5], v[17:18] offset1:77
	v_add_f64 v[4:5], v[150:151], v[134:135]
	v_add_f64 v[17:18], v[66:67], -v[150:151]
	v_add_f64 v[66:67], v[66:67], -v[174:175]
	v_fma_f64 v[4:5], v[4:5], -0.5, v[104:105]
	v_add_f64 v[17:18], v[17:18], v[22:23]
	v_fma_f64 v[22:23], v[15:16], s[18:19], v[4:5]
	v_fma_f64 v[4:5], v[15:16], s[8:9], v[4:5]
	;; [unrolled: 1-line block ×6, first 2 shown]
	ds_write2_b64 v222, v[22:23], v[4:5] offset0:154 offset1:231
	v_fma_f64 v[4:5], v[10:11], s[18:19], v[8:9]
	v_add_f64 v[8:9], v[168:169], -v[136:137]
	v_add_f64 v[10:11], v[80:81], -v[152:153]
	;; [unrolled: 1-line block ×3, first 2 shown]
	v_fma_f64 v[4:5], v[15:16], s[16:17], v[4:5]
	v_add_f64 v[15:16], v[128:129], -v[92:93]
	v_fma_f64 v[4:5], v[6:7], s[14:15], v[4:5]
	v_add_f64 v[6:7], v[108:109], -v[142:143]
	ds_write_b64 v222, v[4:5] offset:2464
	v_add_f64 v[6:7], v[6:7], v[8:9]
	v_add_f64 v[8:9], v[142:143], v[136:137]
	;; [unrolled: 1-line block ×3, first 2 shown]
	v_fma_f64 v[8:9], v[8:9], -0.5, v[98:99]
	v_add_f64 v[4:5], v[4:5], v[142:143]
	v_fma_f64 v[17:18], v[10:11], s[8:9], v[8:9]
	v_add_f64 v[4:5], v[4:5], v[136:137]
	v_fma_f64 v[17:18], v[15:16], s[6:7], v[17:18]
	;; [unrolled: 2-line block ×3, first 2 shown]
	ds_write2_b64 v224, v[4:5], v[17:18] offset0:2 offset1:79
	v_add_f64 v[4:5], v[108:109], v[168:169]
	v_add_f64 v[17:18], v[142:143], -v[108:109]
	v_fma_f64 v[4:5], v[4:5], -0.5, v[98:99]
	v_add_f64 v[17:18], v[17:18], v[22:23]
	v_add_f64 v[98:99], v[20:21], -v[52:53]
	v_fma_f64 v[22:23], v[15:16], s[18:19], v[4:5]
	v_fma_f64 v[4:5], v[15:16], s[8:9], v[4:5]
	;; [unrolled: 1-line block ×6, first 2 shown]
	ds_write2_b64 v224, v[22:23], v[4:5] offset0:156 offset1:233
	v_fma_f64 v[4:5], v[10:11], s[18:19], v[8:9]
	v_add_f64 v[8:9], v[138:139], -v[164:165]
	v_add_f64 v[10:11], v[112:113], -v[86:87]
	v_add_f64 v[22:23], v[164:165], -v[138:139]
	v_fma_f64 v[4:5], v[15:16], s[16:17], v[4:5]
	v_add_f64 v[15:16], v[78:79], -v[148:149]
	v_fma_f64 v[4:5], v[6:7], s[14:15], v[4:5]
	v_add_f64 v[6:7], v[144:145], -v[94:95]
	ds_write_b64 v223, v[4:5] offset:8624
	v_add_f64 v[6:7], v[6:7], v[8:9]
	v_add_f64 v[8:9], v[94:95], v[164:165]
	v_mul_u32_u24_e32 v4, 0xc08, v32
	v_lshlrev_b32_sdwa v5, v19, v33 dst_sel:DWORD dst_unused:UNUSED_PAD src0_sel:DWORD src1_sel:WORD_0
	v_add3_u32 v225, 0, v4, v5
	v_add_f64 v[4:5], v[96:97], v[144:145]
	v_fma_f64 v[8:9], v[8:9], -0.5, v[96:97]
	v_add_f64 v[4:5], v[4:5], v[94:95]
	v_fma_f64 v[17:18], v[10:11], s[8:9], v[8:9]
	v_add_f64 v[4:5], v[4:5], v[164:165]
	v_fma_f64 v[17:18], v[15:16], s[6:7], v[17:18]
	;; [unrolled: 2-line block ×3, first 2 shown]
	ds_write2_b64 v225, v[4:5], v[17:18] offset1:77
	v_add_f64 v[4:5], v[144:145], v[138:139]
	v_add_f64 v[17:18], v[94:95], -v[144:145]
	v_fma_f64 v[4:5], v[4:5], -0.5, v[96:97]
	v_add_f64 v[17:18], v[17:18], v[22:23]
	v_add_f64 v[96:97], v[118:119], -v[12:13]
	v_fma_f64 v[22:23], v[15:16], s[18:19], v[4:5]
	v_fma_f64 v[4:5], v[15:16], s[8:9], v[4:5]
	v_fma_f64 v[22:23], v[10:11], s[6:7], v[22:23]
	v_fma_f64 v[4:5], v[10:11], s[16:17], v[4:5]
	v_fma_f64 v[22:23], v[17:18], s[14:15], v[22:23]
	v_fma_f64 v[4:5], v[17:18], s[14:15], v[4:5]
	ds_write2_b64 v225, v[22:23], v[4:5] offset0:154 offset1:231
	v_fma_f64 v[4:5], v[10:11], s[18:19], v[8:9]
	v_add_f64 v[8:9], v[184:185], -v[146:147]
	v_add_f64 v[10:11], v[76:77], -v[182:183]
	v_fma_f64 v[4:5], v[15:16], s[16:17], v[4:5]
	v_add_f64 v[15:16], v[162:163], -v[114:115]
	v_fma_f64 v[4:5], v[6:7], s[14:15], v[4:5]
	v_add_f64 v[6:7], v[88:89], -v[176:177]
	ds_write_b64 v225, v[4:5] offset:2464
	v_add_f64 v[6:7], v[6:7], v[8:9]
	v_add_f64 v[8:9], v[176:177], v[146:147]
	v_lshlrev_b32_sdwa v4, v19, v25 dst_sel:DWORD dst_unused:UNUSED_PAD src0_sel:DWORD src1_sel:WORD_0
	v_mul_u32_u24_e32 v5, 0xc08, v24
	v_add3_u32 v226, 0, v5, v4
	v_add_f64 v[4:5], v[0:1], v[88:89]
	v_fma_f64 v[8:9], v[8:9], -0.5, v[0:1]
	v_add_f64 v[4:5], v[4:5], v[176:177]
	v_fma_f64 v[17:18], v[10:11], s[8:9], v[8:9]
	v_add_f64 v[4:5], v[4:5], v[146:147]
	v_fma_f64 v[17:18], v[15:16], s[6:7], v[17:18]
	;; [unrolled: 2-line block ×3, first 2 shown]
	ds_write2_b64 v226, v[4:5], v[17:18] offset1:77
	v_add_f64 v[4:5], v[176:177], -v[88:89]
	v_add_f64 v[17:18], v[146:147], -v[184:185]
	v_add_f64 v[4:5], v[4:5], v[17:18]
	v_add_f64 v[17:18], v[88:89], v[184:185]
	v_fma_f64 v[0:1], v[17:18], -0.5, v[0:1]
	v_fma_f64 v[17:18], v[15:16], s[18:19], v[0:1]
	v_fma_f64 v[0:1], v[15:16], s[8:9], v[0:1]
	;; [unrolled: 1-line block ×6, first 2 shown]
	v_add_f64 v[4:5], v[132:133], v[160:161]
	ds_write2_b64 v226, v[17:18], v[0:1] offset0:154 offset1:231
	v_fma_f64 v[0:1], v[10:11], s[18:19], v[8:9]
	v_add_f64 v[8:9], v[110:111], v[172:173]
	v_fma_f64 v[4:5], v[4:5], -0.5, v[2:3]
	v_add_f64 v[10:11], v[172:173], -v[160:161]
	v_fma_f64 v[0:1], v[15:16], s[16:17], v[0:1]
	v_fma_f64 v[8:9], v[8:9], -0.5, v[2:3]
	v_add_f64 v[2:3], v[2:3], v[110:111]
	v_fma_f64 v[0:1], v[6:7], s[14:15], v[0:1]
	v_add_f64 v[6:7], v[110:111], -v[132:133]
	ds_write_b64 v226, v[0:1] offset:2464
	v_add_f64 v[0:1], v[2:3], v[132:133]
	v_add_f64 v[2:3], v[82:83], -v[156:157]
	v_add_f64 v[6:7], v[6:7], v[10:11]
	v_add_f64 v[10:11], v[102:103], -v[140:141]
	v_add_f64 v[0:1], v[0:1], v[160:161]
	v_fma_f64 v[15:16], v[2:3], s[8:9], v[4:5]
	v_add_f64 v[0:1], v[0:1], v[172:173]
	v_fma_f64 v[15:16], v[10:11], s[6:7], v[15:16]
	v_fma_f64 v[15:16], v[6:7], s[14:15], v[15:16]
	ds_write2_b64 v228, v[0:1], v[15:16] offset0:4 offset1:81
	v_add_f64 v[0:1], v[132:133], -v[110:111]
	v_add_f64 v[14:15], v[160:161], -v[172:173]
	v_add_f64 v[0:1], v[0:1], v[14:15]
	v_fma_f64 v[14:15], v[10:11], s[18:19], v[8:9]
	v_fma_f64 v[8:9], v[10:11], s[8:9], v[8:9]
	;; [unrolled: 1-line block ×6, first 2 shown]
	ds_write2_b64 v228, v[14:15], v[0:1] offset0:158 offset1:235
	v_fma_f64 v[0:1], v[2:3], s[18:19], v[4:5]
	v_add_f64 v[2:3], v[72:73], -v[186:187]
	v_add_f64 v[4:5], v[188:189], -v[180:181]
	v_fma_f64 v[0:1], v[10:11], s[16:17], v[0:1]
	v_add_f64 v[104:105], v[2:3], v[4:5]
	v_add_f64 v[2:3], v[186:187], v[180:181]
	v_fma_f64 v[0:1], v[6:7], s[14:15], v[0:1]
	v_fma_f64 v[106:107], v[2:3], -0.5, v[198:199]
	ds_write_b64 v227, v[0:1] offset:14784
	v_add_f64 v[0:1], v[198:199], v[72:73]
	s_waitcnt lgkmcnt(0)
	v_fma_f64 v[2:3], v[96:97], s[18:19], v[106:107]
	s_barrier
	buffer_gl0_inv
	v_add_f64 v[0:1], v[0:1], v[186:187]
	v_add_f64 v[186:187], v[186:187], -v[72:73]
	v_add_f64 v[72:73], v[72:73], v[188:189]
	v_fma_f64 v[2:3], v[98:99], s[16:17], v[2:3]
	v_add_f64 v[0:1], v[0:1], v[180:181]
	v_add_f64 v[180:181], v[180:181], -v[188:189]
	v_fma_f64 v[72:73], v[72:73], -0.5, v[198:199]
	v_fma_f64 v[215:216], v[104:105], s[14:15], v[2:3]
	v_add_f64 v[212:213], v[0:1], v[188:189]
	v_add_f64 v[180:181], v[186:187], v[180:181]
	v_fma_f64 v[186:187], v[98:99], s[8:9], v[72:73]
	v_fma_f64 v[72:73], v[98:99], s[18:19], v[72:73]
	ds_read_b64 v[118:119], v239
	ds_read_b64 v[124:125], v233
	;; [unrolled: 1-line block ×4, first 2 shown]
	s_waitcnt lgkmcnt(0)
	buffer_store_dword v0, off, s[40:43], 0 offset:44 ; 4-byte Folded Spill
	buffer_store_dword v1, off, s[40:43], 0 offset:48 ; 4-byte Folded Spill
	v_fma_f64 v[186:187], v[96:97], s[16:17], v[186:187]
	v_fma_f64 v[72:73], v[96:97], s[6:7], v[72:73]
	ds_read_b64 v[126:127], v240
	ds_read2_b64 v[2:5], v201 offset0:129 offset1:184
	ds_read2_b64 v[120:123], v202 offset0:75 offset1:130
	;; [unrolled: 1-line block ×15, first 2 shown]
	s_waitcnt lgkmcnt(0)
	s_waitcnt_vscnt null, 0x0
	s_barrier
	buffer_gl0_inv
	ds_write2_b64 v239, v[212:213], v[215:216] offset1:77
	v_fma_f64 v[186:187], v[180:181], s[14:15], v[186:187]
	v_fma_f64 v[72:73], v[180:181], s[14:15], v[72:73]
	ds_write2_b64 v239, v[186:187], v[72:73] offset0:154 offset1:231
	v_fma_f64 v[72:73], v[96:97], s[8:9], v[106:107]
	v_add_f64 v[96:97], v[68:69], -v[74:75]
	v_fma_f64 v[72:73], v[98:99], s[6:7], v[72:73]
	v_add_f64 v[98:99], v[166:167], -v[154:155]
	v_fma_f64 v[72:73], v[104:105], s[14:15], v[72:73]
	v_add_f64 v[96:97], v[96:97], v[98:99]
	v_add_f64 v[98:99], v[74:75], v[154:155]
	ds_write_b64 v239, v[72:73] offset:2464
	v_add_f64 v[72:73], v[196:197], v[68:69]
	v_fma_f64 v[98:99], v[98:99], -0.5, v[196:197]
	v_add_f64 v[72:73], v[72:73], v[74:75]
	v_fma_f64 v[104:105], v[70:71], s[18:19], v[98:99]
	v_add_f64 v[72:73], v[72:73], v[154:155]
	v_fma_f64 v[104:105], v[84:85], s[16:17], v[104:105]
	;; [unrolled: 2-line block ×3, first 2 shown]
	ds_write2_b64 v217, v[72:73], v[104:105] offset1:77
	v_add_f64 v[72:73], v[74:75], -v[68:69]
	v_add_f64 v[68:69], v[68:69], v[166:167]
	v_add_f64 v[74:75], v[154:155], -v[166:167]
	v_fma_f64 v[68:69], v[68:69], -0.5, v[196:197]
	v_add_f64 v[72:73], v[72:73], v[74:75]
	v_fma_f64 v[74:75], v[84:85], s[8:9], v[68:69]
	v_fma_f64 v[68:69], v[84:85], s[18:19], v[68:69]
	;; [unrolled: 1-line block ×6, first 2 shown]
	v_add_f64 v[72:73], v[194:195], v[130:131]
	ds_write2_b64 v217, v[74:75], v[68:69] offset0:154 offset1:231
	v_fma_f64 v[68:69], v[70:71], s[8:9], v[98:99]
	v_add_f64 v[70:71], v[90:91], -v[158:159]
	v_add_f64 v[74:75], v[64:65], v[158:159]
	v_add_f64 v[72:73], v[72:73], v[64:65]
	v_fma_f64 v[68:69], v[84:85], s[6:7], v[68:69]
	v_fma_f64 v[74:75], v[74:75], -0.5, v[194:195]
	v_add_f64 v[72:73], v[72:73], v[158:159]
	v_fma_f64 v[68:69], v[96:97], s[14:15], v[68:69]
	v_add_f64 v[72:73], v[72:73], v[90:91]
	ds_write_b64 v217, v[68:69] offset:2464
	v_add_f64 v[68:69], v[130:131], -v[64:65]
	v_add_f64 v[64:65], v[64:65], -v[130:131]
	v_add_f64 v[68:69], v[68:69], v[70:71]
	v_add_f64 v[70:71], v[150:151], -v[134:135]
	v_fma_f64 v[84:85], v[70:71], s[18:19], v[74:75]
	v_fma_f64 v[84:85], v[66:67], s[16:17], v[84:85]
	;; [unrolled: 1-line block ×3, first 2 shown]
	ds_write2_b64 v222, v[72:73], v[84:85] offset1:77
	v_add_f64 v[72:73], v[130:131], v[90:91]
	v_add_f64 v[84:85], v[158:159], -v[90:91]
	v_fma_f64 v[72:73], v[72:73], -0.5, v[194:195]
	v_add_f64 v[64:65], v[64:65], v[84:85]
	v_fma_f64 v[84:85], v[66:67], s[8:9], v[72:73]
	v_fma_f64 v[72:73], v[66:67], s[18:19], v[72:73]
	;; [unrolled: 1-line block ×6, first 2 shown]
	v_add_f64 v[72:73], v[128:129], v[92:93]
	ds_write2_b64 v222, v[84:85], v[64:65] offset0:154 offset1:231
	v_fma_f64 v[64:65], v[70:71], s[8:9], v[74:75]
	v_add_f64 v[70:71], v[192:193], v[80:81]
	v_fma_f64 v[72:73], v[72:73], -0.5, v[192:193]
	v_fma_f64 v[64:65], v[66:67], s[6:7], v[64:65]
	v_add_f64 v[66:67], v[152:153], -v[92:93]
	v_add_f64 v[70:71], v[70:71], v[128:129]
	v_fma_f64 v[64:65], v[68:69], s[14:15], v[64:65]
	v_add_f64 v[68:69], v[142:143], -v[136:137]
	v_add_f64 v[70:71], v[70:71], v[92:93]
	ds_write_b64 v222, v[64:65] offset:2464
	v_add_f64 v[64:65], v[80:81], -v[128:129]
	v_add_f64 v[70:71], v[70:71], v[152:153]
	v_add_f64 v[64:65], v[64:65], v[66:67]
	v_add_f64 v[66:67], v[108:109], -v[168:169]
	v_fma_f64 v[74:75], v[66:67], s[18:19], v[72:73]
	v_fma_f64 v[74:75], v[68:69], s[16:17], v[74:75]
	;; [unrolled: 1-line block ×3, first 2 shown]
	ds_write2_b64 v224, v[70:71], v[74:75] offset0:2 offset1:79
	v_add_f64 v[74:75], v[80:81], v[152:153]
	v_add_f64 v[70:71], v[128:129], -v[80:81]
	v_add_f64 v[80:81], v[92:93], -v[152:153]
	v_fma_f64 v[74:75], v[74:75], -0.5, v[192:193]
	v_add_f64 v[70:71], v[70:71], v[80:81]
	v_fma_f64 v[80:81], v[68:69], s[8:9], v[74:75]
	v_fma_f64 v[74:75], v[68:69], s[18:19], v[74:75]
	;; [unrolled: 1-line block ×5, first 2 shown]
	v_add_f64 v[72:73], v[78:79], v[148:149]
	v_fma_f64 v[80:81], v[70:71], s[14:15], v[80:81]
	v_fma_f64 v[70:71], v[70:71], s[14:15], v[74:75]
	;; [unrolled: 1-line block ×3, first 2 shown]
	v_add_f64 v[68:69], v[112:113], -v[78:79]
	v_fma_f64 v[72:73], v[72:73], -0.5, v[190:191]
	ds_write2_b64 v224, v[80:81], v[70:71] offset0:156 offset1:233
	v_fma_f64 v[64:65], v[64:65], s[14:15], v[66:67]
	v_add_f64 v[70:71], v[86:87], -v[148:149]
	v_add_f64 v[66:67], v[94:95], -v[164:165]
	ds_write_b64 v223, v[64:65] offset:8624
	v_add_f64 v[64:65], v[144:145], -v[138:139]
	v_add_f64 v[68:69], v[68:69], v[70:71]
	v_add_f64 v[70:71], v[190:191], v[112:113]
	v_fma_f64 v[74:75], v[64:65], s[18:19], v[72:73]
	v_add_f64 v[70:71], v[70:71], v[78:79]
	v_fma_f64 v[74:75], v[66:67], s[16:17], v[74:75]
	;; [unrolled: 2-line block ×3, first 2 shown]
	v_add_f64 v[70:71], v[70:71], v[86:87]
	ds_write2_b64 v225, v[70:71], v[74:75] offset1:77
	v_add_f64 v[74:75], v[112:113], v[86:87]
	v_add_f64 v[70:71], v[78:79], -v[112:113]
	v_add_f64 v[78:79], v[148:149], -v[86:87]
	v_fma_f64 v[74:75], v[74:75], -0.5, v[190:191]
	v_add_f64 v[70:71], v[70:71], v[78:79]
	v_fma_f64 v[78:79], v[66:67], s[8:9], v[74:75]
	v_fma_f64 v[74:75], v[66:67], s[18:19], v[74:75]
	;; [unrolled: 1-line block ×5, first 2 shown]
	v_add_f64 v[72:73], v[162:163], v[114:115]
	v_fma_f64 v[78:79], v[70:71], s[14:15], v[78:79]
	v_fma_f64 v[70:71], v[70:71], s[14:15], v[74:75]
	;; [unrolled: 1-line block ×3, first 2 shown]
	v_fma_f64 v[72:73], v[72:73], -0.5, v[60:61]
	v_add_f64 v[66:67], v[176:177], -v[146:147]
	ds_write2_b64 v225, v[78:79], v[70:71] offset0:154 offset1:231
	v_fma_f64 v[64:65], v[68:69], s[14:15], v[64:65]
	v_add_f64 v[68:69], v[76:77], -v[162:163]
	v_add_f64 v[70:71], v[182:183], -v[114:115]
	ds_write_b64 v225, v[64:65] offset:2464
	v_add_f64 v[64:65], v[88:89], -v[184:185]
	v_add_f64 v[68:69], v[68:69], v[70:71]
	v_add_f64 v[70:71], v[60:61], v[76:77]
	v_fma_f64 v[74:75], v[64:65], s[18:19], v[72:73]
	v_add_f64 v[70:71], v[70:71], v[162:163]
	v_fma_f64 v[74:75], v[66:67], s[16:17], v[74:75]
	;; [unrolled: 2-line block ×3, first 2 shown]
	v_add_f64 v[70:71], v[70:71], v[182:183]
	ds_write2_b64 v226, v[70:71], v[74:75] offset1:77
	v_add_f64 v[70:71], v[162:163], -v[76:77]
	v_add_f64 v[76:77], v[76:77], v[182:183]
	v_add_f64 v[74:75], v[114:115], -v[182:183]
	v_fma_f64 v[60:61], v[76:77], -0.5, v[60:61]
	v_add_f64 v[70:71], v[70:71], v[74:75]
	v_fma_f64 v[74:75], v[66:67], s[8:9], v[60:61]
	v_fma_f64 v[60:61], v[66:67], s[18:19], v[60:61]
	;; [unrolled: 1-line block ×6, first 2 shown]
	v_add_f64 v[70:71], v[82:83], -v[102:103]
	ds_write2_b64 v226, v[74:75], v[60:61] offset0:154 offset1:231
	v_fma_f64 v[60:61], v[64:65], s[8:9], v[72:73]
	v_add_f64 v[64:65], v[82:83], v[156:157]
	v_add_f64 v[72:73], v[156:157], -v[140:141]
	v_fma_f64 v[60:61], v[66:67], s[6:7], v[60:61]
	v_fma_f64 v[64:65], v[64:65], -0.5, v[62:63]
	v_add_f64 v[66:67], v[110:111], -v[172:173]
	v_add_f64 v[70:71], v[70:71], v[72:73]
	v_fma_f64 v[60:61], v[68:69], s[14:15], v[60:61]
	v_add_f64 v[68:69], v[132:133], -v[160:161]
	ds_write_b64 v226, v[60:61] offset:2464
	v_add_f64 v[60:61], v[102:103], v[140:141]
	v_fma_f64 v[60:61], v[60:61], -0.5, v[62:63]
	v_add_f64 v[62:63], v[62:63], v[82:83]
	v_fma_f64 v[72:73], v[66:67], s[18:19], v[60:61]
	v_add_f64 v[62:63], v[62:63], v[102:103]
	v_fma_f64 v[60:61], v[66:67], s[8:9], v[60:61]
	v_fma_f64 v[72:73], v[68:69], s[16:17], v[72:73]
	v_add_f64 v[62:63], v[62:63], v[140:141]
	v_fma_f64 v[60:61], v[68:69], s[6:7], v[60:61]
	;; [unrolled: 3-line block ×3, first 2 shown]
	ds_write2_b64 v228, v[62:63], v[72:73] offset0:4 offset1:81
	v_add_f64 v[62:63], v[102:103], -v[82:83]
	v_add_f64 v[72:73], v[140:141], -v[156:157]
	ds_write_b64 v227, v[60:61] offset:14784
	v_add_f64 v[62:63], v[62:63], v[72:73]
	v_fma_f64 v[72:73], v[68:69], s[8:9], v[64:65]
	v_fma_f64 v[64:65], v[68:69], s[18:19], v[64:65]
	v_fma_f64 v[72:73], v[66:67], s[16:17], v[72:73]
	v_fma_f64 v[64:65], v[66:67], s[6:7], v[64:65]
	v_fma_f64 v[72:73], v[62:63], s[14:15], v[72:73]
	v_fma_f64 v[62:63], v[62:63], s[14:15], v[64:65]
	ds_write2_b64 v228, v[72:73], v[62:63] offset0:158 offset1:235
	s_waitcnt lgkmcnt(0)
	s_barrier
	buffer_gl0_inv
	s_and_saveexec_b32 s0, vcc_lo
	s_cbranch_execz .LBB0_23
; %bb.22:
	v_lshlrev_b32_e32 v100, 2, v100
	v_mov_b32_e32 v129, v119
	v_mov_b32_e32 v128, v118
	v_add_nc_u32_e32 v118, 0x3800, v239
	v_add_nc_u32_e32 v0, 0x2000, v239
	v_lshlrev_b64 v[60:61], 4, v[100:101]
	v_lshlrev_b32_e32 v100, 2, v214
	v_add_nc_u32_e32 v178, 0x1000, v239
	v_add_nc_u32_e32 v1, 0x2c00, v239
	v_mul_lo_u32 v18, s5, v220
	v_mul_lo_u32 v19, s4, v221
	v_add_co_u32 v62, vcc_lo, s12, v60
	v_add_co_ci_u32_e32 v63, vcc_lo, s13, v61, vcc_lo
	v_lshlrev_b64 v[60:61], 4, v[100:101]
	v_add_co_u32 v80, vcc_lo, 0x17a0, v62
	v_add_co_ci_u32_e32 v81, vcc_lo, 0, v63, vcc_lo
	v_lshlrev_b32_e32 v100, 2, v232
	v_add_co_u32 v70, vcc_lo, s12, v60
	v_add_co_ci_u32_e32 v71, vcc_lo, s13, v61, vcc_lo
	v_add_co_u32 v60, vcc_lo, 0x1000, v62
	v_add_co_ci_u32_e32 v61, vcc_lo, 0, v63, vcc_lo
	v_add_co_u32 v84, vcc_lo, 0x17a0, v70
	v_lshlrev_b64 v[68:69], 4, v[100:101]
	v_add_co_ci_u32_e32 v85, vcc_lo, 0, v71, vcc_lo
	v_add_co_u32 v86, vcc_lo, 0x1000, v70
	v_add_co_ci_u32_e32 v87, vcc_lo, 0, v71, vcc_lo
	v_add_co_u32 v90, vcc_lo, s12, v68
	v_add_co_ci_u32_e32 v91, vcc_lo, s13, v69, vcc_lo
	v_lshlrev_b32_e32 v100, 2, v231
	v_add_co_u32 v88, vcc_lo, 0x1000, v90
	v_add_co_ci_u32_e32 v89, vcc_lo, 0, v91, vcc_lo
	s_clause 0x8
	global_load_dwordx4 v[76:79], v[80:81], off offset:48
	global_load_dwordx4 v[60:63], v[60:61], off offset:1952
	;; [unrolled: 1-line block ×9, first 2 shown]
	v_lshlrev_b64 v[88:89], 4, v[100:101]
	v_add_co_u32 v102, vcc_lo, 0x17a0, v90
	v_add_co_ci_u32_e32 v103, vcc_lo, 0, v91, vcc_lo
	v_lshlrev_b32_e32 v100, 2, v230
	v_add_co_u32 v106, vcc_lo, s12, v88
	v_add_co_ci_u32_e32 v107, vcc_lo, s13, v89, vcc_lo
	global_load_dwordx4 v[88:91], v[102:103], off offset:32
	v_add_co_u32 v104, vcc_lo, 0x1000, v106
	v_add_co_ci_u32_e32 v105, vcc_lo, 0, v107, vcc_lo
	v_add_co_u32 v106, vcc_lo, 0x17a0, v106
	s_clause 0x1
	global_load_dwordx4 v[130:133], v[102:103], off offset:48
	global_load_dwordx4 v[134:137], v[102:103], off offset:16
	v_lshlrev_b64 v[102:103], 4, v[100:101]
	v_add_co_ci_u32_e32 v107, vcc_lo, 0, v107, vcc_lo
	s_clause 0x3
	global_load_dwordx4 v[138:141], v[104:105], off offset:1952
	global_load_dwordx4 v[142:145], v[106:107], off offset:48
	;; [unrolled: 1-line block ×4, first 2 shown]
	v_add_co_u32 v104, vcc_lo, s12, v102
	v_lshlrev_b32_e32 v100, 2, v229
	v_add_co_ci_u32_e32 v105, vcc_lo, s13, v103, vcc_lo
	v_add_co_u32 v102, vcc_lo, 0x17a0, v104
	v_lshlrev_b64 v[100:101], 4, v[100:101]
	v_add_co_ci_u32_e32 v103, vcc_lo, 0, v105, vcc_lo
	v_add_co_u32 v104, vcc_lo, 0x1000, v104
	v_add_co_ci_u32_e32 v105, vcc_lo, 0, v105, vcc_lo
	v_add_co_u32 v100, vcc_lo, s12, v100
	v_add_co_ci_u32_e32 v101, vcc_lo, s13, v101, vcc_lo
	s_clause 0x1
	global_load_dwordx4 v[154:157], v[102:103], off offset:32
	global_load_dwordx4 v[158:161], v[102:103], off offset:16
	v_add_co_u32 v112, vcc_lo, 0x17a0, v100
	v_add_co_ci_u32_e32 v113, vcc_lo, 0, v101, vcc_lo
	v_add_co_u32 v100, vcc_lo, 0x1000, v100
	v_add_co_ci_u32_e32 v101, vcc_lo, 0, v101, vcc_lo
	s_clause 0x5
	global_load_dwordx4 v[162:165], v[104:105], off offset:1952
	global_load_dwordx4 v[166:169], v[102:103], off offset:48
	;; [unrolled: 1-line block ×6, first 2 shown]
	buffer_store_dword v12, off, s[40:43], 0 offset:8 ; 4-byte Folded Spill
	buffer_store_dword v13, off, s[40:43], 0 offset:12 ; 4-byte Folded Spill
	;; [unrolled: 1-line block ×4, first 2 shown]
	ds_read2_b64 v[170:173], v118 offset0:23 offset1:78
	ds_read2_b64 v[174:177], v0 offset0:21 offset1:76
	;; [unrolled: 1-line block ×3, first 2 shown]
	v_lshl_add_u32 v118, v238, 3, 0
	v_mov_b32_e32 v17, v11
	v_mov_b32_e32 v16, v10
	;; [unrolled: 1-line block ×4, first 2 shown]
	v_mad_u64_u32 v[8:9], null, s4, v220, 0
	v_add_nc_u32_e32 v118, 0x800, v118
	v_add_nc_u32_e32 v119, 0x1400, v239
	;; [unrolled: 1-line block ×3, first 2 shown]
	v_mov_b32_e32 v13, v5
	v_add_nc_u32_e32 v206, 0x1800, v239
	ds_read_b64 v[232:233], v233
	ds_read_b64 v[234:235], v234
	;; [unrolled: 1-line block ×5, first 2 shown]
	ds_read2_b64 v[182:185], v119 offset0:75 offset1:130
	v_mov_b32_e32 v12, v4
	v_mov_b32_e32 v11, v3
	;; [unrolled: 1-line block ×4, first 2 shown]
	v_add_nc_u32_e32 v210, 0x3000, v239
	v_mov_b32_e32 v3, v202
	v_mov_b32_e32 v4, v203
	v_mov_b32_e32 v5, v204
	v_add_nc_u32_e32 v202, 0xc00, v239
	v_add_nc_u32_e32 v252, 0x800, v239
	;; [unrolled: 1-line block ×3, first 2 shown]
	v_add_co_u32 v228, vcc_lo, 0x17a0, v116
	v_add_co_ci_u32_e32 v229, vcc_lo, 0, v117, vcc_lo
	v_add_co_u32 v116, vcc_lo, 0x1000, v116
	v_add_co_ci_u32_e32 v117, vcc_lo, 0, v117, vcc_lo
	v_add3_u32 v9, v9, v19, v18
	s_waitcnt vmcnt(23) lgkmcnt(8)
	v_mul_f64 v[214:215], v[76:77], v[172:173]
	v_mul_f64 v[216:217], v[78:79], v[172:173]
	s_waitcnt vmcnt(21) lgkmcnt(7)
	v_mul_f64 v[224:225], v[64:65], v[176:177]
	s_waitcnt vmcnt(20)
	v_mul_f64 v[220:221], v[72:73], v[170:171]
	v_mul_f64 v[222:223], v[74:75], v[170:171]
	;; [unrolled: 1-line block ×3, first 2 shown]
	s_waitcnt vmcnt(19)
	v_mul_f64 v[230:231], v[68:69], v[174:175]
	v_mul_f64 v[244:245], v[70:71], v[174:175]
	s_waitcnt vmcnt(15) lgkmcnt(6)
	v_mul_f64 v[248:249], v[92:93], v[178:179]
	v_mul_f64 v[250:251], v[94:95], v[178:179]
	ds_read2_b64 v[170:173], v1 offset0:77 offset1:132
	ds_read2_b64 v[186:189], v118 offset0:19 offset1:74
	;; [unrolled: 1-line block ×5, first 2 shown]
	v_mul_f64 v[246:247], v[96:97], v[180:181]
	ds_read2_b64 v[174:177], v202 offset0:111 offset1:166
	ds_read2_b64 v[202:205], v203 offset0:113 offset1:168
	;; [unrolled: 1-line block ×4, first 2 shown]
	v_fma_f64 v[78:79], v[58:59], v[78:79], v[214:215]
	v_fma_f64 v[58:59], v[58:59], v[76:77], -v[216:217]
	v_mul_f64 v[76:77], v[98:99], v[180:181]
	ds_read2_b64 v[178:181], v252 offset0:129 offset1:184
	v_fma_f64 v[74:75], v[56:57], v[74:75], v[220:221]
	v_fma_f64 v[56:57], v[56:57], v[72:73], -v[222:223]
	s_waitcnt lgkmcnt(7)
	v_mul_f64 v[72:73], v[84:85], v[192:193]
	v_mul_f64 v[252:253], v[86:87], v[192:193]
	s_waitcnt vmcnt(14)
	v_mul_f64 v[118:119], v[90:91], v[190:191]
	v_fma_f64 v[66:67], v[54:55], v[66:67], v[224:225]
	v_fma_f64 v[54:55], v[54:55], v[64:65], -v[226:227]
	v_fma_f64 v[64:65], v[52:53], v[70:71], v[230:231]
	v_fma_f64 v[52:53], v[52:53], v[68:69], -v[244:245]
	v_mul_f64 v[68:69], v[60:61], v[182:183]
	v_fma_f64 v[94:95], v[48:49], v[94:95], v[248:249]
	v_fma_f64 v[48:49], v[48:49], v[92:93], -v[250:251]
	v_mul_f64 v[92:93], v[82:83], v[170:171]
	v_fma_f64 v[70:71], v[50:51], v[98:99], v[246:247]
	v_mov_b32_e32 v247, v123
	v_mov_b32_e32 v245, v121
	;; [unrolled: 1-line block ×3, first 2 shown]
	v_mul_f64 v[254:255], v[88:89], v[190:191]
	ds_read2_b64 v[190:193], v0 offset0:131 offset1:186
	s_clause 0x3
	global_load_dwordx4 v[214:217], v[116:117], off offset:1952
	global_load_dwordx4 v[220:223], v[228:229], off offset:48
	;; [unrolled: 1-line block ×4, first 2 shown]
	buffer_store_dword v8, off, s[40:43], 0 ; 4-byte Folded Spill
	buffer_store_dword v9, off, s[40:43], 0 offset:4 ; 4-byte Folded Spill
	v_fma_f64 v[50:51], v[50:51], v[96:97], -v[76:77]
	v_mul_f64 v[96:97], v[62:63], v[182:183]
	s_waitcnt vmcnt(16) lgkmcnt(7)
	v_mul_f64 v[98:99], v[134:135], v[196:197]
	v_fma_f64 v[72:73], v[46:47], v[86:87], v[72:73]
	v_fma_f64 v[46:47], v[46:47], v[84:85], -v[252:253]
	v_mul_f64 v[84:85], v[136:137], v[196:197]
	v_fma_f64 v[88:89], v[44:45], v[88:89], -v[118:119]
	s_waitcnt vmcnt(13) lgkmcnt(4)
	v_mul_f64 v[118:119], v[146:147], v[204:205]
	v_mul_f64 v[182:183], v[142:143], v[198:199]
	;; [unrolled: 1-line block ×4, first 2 shown]
	v_mov_b32_e32 v246, v122
	v_fma_f64 v[62:63], v[244:245], v[62:63], v[68:69]
	s_clause 0x1
	buffer_load_dword v120, off, s[40:43], 0 offset:44
	buffer_load_dword v121, off, s[40:43], 0 offset:48
	s_waitcnt vmcnt(13)
	v_mul_f64 v[68:69], v[154:155], v[202:203]
	v_fma_f64 v[8:9], v[14:15], v[80:81], -v[92:93]
	v_mul_f64 v[92:93], v[156:157], v[202:203]
	s_waitcnt vmcnt(9) lgkmcnt(3)
	v_mul_f64 v[202:203], v[108:109], v[206:207]
	v_mul_f64 v[122:123], v[110:111], v[206:207]
	s_clause 0x3
	buffer_load_dword v204, off, s[40:43], 0 offset:8
	buffer_load_dword v205, off, s[40:43], 0 offset:12
	;; [unrolled: 1-line block ×4, first 2 shown]
	v_mul_f64 v[76:77], v[80:81], v[170:171]
	v_mul_f64 v[116:117], v[130:131], v[200:201]
	;; [unrolled: 1-line block ×4, first 2 shown]
	v_fma_f64 v[90:91], v[44:45], v[90:91], v[254:255]
	v_mul_f64 v[44:45], v[138:139], v[176:177]
	v_mul_f64 v[176:177], v[140:141], v[176:177]
	;; [unrolled: 1-line block ×3, first 2 shown]
	v_fma_f64 v[0:1], v[244:245], v[60:61], -v[96:97]
	v_mul_f64 v[194:195], v[152:153], v[194:195]
	v_mul_f64 v[60:61], v[162:163], v[174:175]
	v_fma_f64 v[98:99], v[38:39], v[136:137], v[98:99]
	v_fma_f64 v[38:39], v[38:39], v[134:135], -v[84:85]
	v_fma_f64 v[118:119], v[30:31], v[148:149], v[118:119]
	v_fma_f64 v[134:135], v[40:41], v[144:145], v[182:183]
	v_mul_f64 v[96:97], v[164:165], v[174:175]
	v_fma_f64 v[144:145], v[28:29], v[156:157], v[68:69]
	s_waitcnt lgkmcnt(2)
	v_mul_f64 v[80:81], v[168:169], v[212:213]
	v_fma_f64 v[154:155], v[28:29], v[154:155], -v[92:93]
	v_add_f64 v[28:29], v[62:63], v[188:189]
	v_fma_f64 v[136:137], v[40:41], v[142:143], -v[196:197]
	v_add_f64 v[92:93], v[24:25], v[50:51]
	v_fma_f64 v[76:77], v[14:15], v[82:83], v[76:77]
	v_mul_f64 v[82:83], v[160:161], v[208:209]
	v_fma_f64 v[116:117], v[42:43], v[132:133], v[116:117]
	v_fma_f64 v[84:85], v[36:37], v[152:153], v[86:87]
	v_fma_f64 v[130:131], v[42:43], v[130:131], -v[170:171]
	v_fma_f64 v[86:87], v[34:35], v[140:141], v[44:45]
	v_fma_f64 v[34:35], v[34:35], v[138:139], -v[176:177]
	v_fma_f64 v[138:139], v[30:31], v[146:147], -v[198:199]
	v_fma_f64 v[140:141], v[22:23], v[160:161], v[200:201]
	v_add_f64 v[30:31], v[0:1], v[58:59]
	v_fma_f64 v[142:143], v[32:33], v[164:165], v[60:61]
	v_add_f64 v[42:43], v[26:27], v[0:1]
	v_add_f64 v[60:61], v[54:55], -v[8:9]
	v_add_f64 v[44:45], v[70:71], v[186:187]
	v_add_f64 v[164:165], v[94:95], v[240:241]
	v_mul_f64 v[174:175], v[166:167], v[212:213]
	v_fma_f64 v[36:37], v[36:37], v[150:151], -v[194:195]
	v_fma_f64 v[148:149], v[32:33], v[162:163], -v[96:97]
	;; [unrolled: 1-line block ×3, first 2 shown]
	v_add_f64 v[28:29], v[66:67], v[28:29]
	v_add_f64 v[18:19], v[66:67], -v[62:63]
	v_add_f64 v[40:41], v[0:1], -v[58:59]
	v_add_f64 v[32:33], v[76:77], -v[78:79]
	v_fma_f64 v[152:153], v[22:23], v[158:159], -v[82:83]
	v_add_f64 v[22:23], v[62:63], v[78:79]
	v_add_f64 v[82:83], v[66:67], v[76:77]
	v_add_f64 v[158:159], v[66:67], -v[76:77]
	v_add_f64 v[68:69], v[62:63], -v[66:67]
	;; [unrolled: 1-line block ×5, first 2 shown]
	v_fma_f64 v[30:31], v[30:31], -0.5, v[26:27]
	v_add_f64 v[160:161], v[70:71], v[74:75]
	v_add_f64 v[162:163], v[64:65], v[72:73]
	;; [unrolled: 1-line block ×3, first 2 shown]
	v_add_f64 v[62:63], v[62:63], -v[78:79]
	v_add_f64 v[0:1], v[0:1], -v[54:55]
	v_add_f64 v[66:67], v[54:55], v[8:9]
	v_add_f64 v[42:43], v[54:55], v[42:43]
	v_add_f64 v[182:183], v[50:51], -v[56:57]
	v_add_f64 v[194:195], v[52:53], -v[46:47]
	v_add_f64 v[44:45], v[64:65], v[44:45]
	v_add_f64 v[54:55], v[52:53], v[92:93]
	;; [unrolled: 1-line block ×5, first 2 shown]
	v_fma_f64 v[22:23], v[22:23], -0.5, v[188:189]
	v_fma_f64 v[82:83], v[82:83], -0.5, v[188:189]
	v_add_f64 v[188:189], v[52:53], -v[50:51]
	v_add_f64 v[50:51], v[50:51], -v[52:53]
	v_add_f64 v[28:29], v[76:77], v[28:29]
	v_fma_f64 v[146:147], v[4:5], v[168:169], v[174:175]
	v_add_f64 v[168:169], v[58:59], -v[8:9]
	v_fma_f64 v[76:77], v[158:159], s[8:9], v[30:31]
	v_fma_f64 v[30:31], v[158:159], s[18:19], v[30:31]
	v_add_f64 v[174:175], v[64:65], -v[70:71]
	v_add_f64 v[176:177], v[72:73], -v[74:75]
	v_add_f64 v[196:197], v[70:71], -v[64:65]
	v_fma_f64 v[160:161], v[160:161], -0.5, v[186:187]
	v_fma_f64 v[162:163], v[162:163], -0.5, v[186:187]
	v_add_f64 v[166:167], v[38:39], v[166:167]
	v_add_f64 v[186:187], v[74:75], -v[72:73]
	v_add_f64 v[8:9], v[42:43], v[8:9]
	v_add_f64 v[200:201], v[46:47], -v[56:57]
	v_add_f64 v[64:65], v[64:65], -v[72:73]
	v_add_f64 v[42:43], v[72:73], v[44:45]
	v_add_f64 v[72:73], v[56:57], -v[46:47]
	v_add_f64 v[46:47], v[54:55], v[46:47]
	v_fma_f64 v[52:53], v[60:61], s[18:19], v[22:23]
	v_fma_f64 v[22:23], v[60:61], s[8:9], v[22:23]
	v_fma_f64 v[66:67], v[66:67], -0.5, v[26:27]
	v_add_f64 v[26:27], v[90:91], v[164:165]
	v_add_f64 v[18:19], v[18:19], v[32:33]
	;; [unrolled: 1-line block ×3, first 2 shown]
	s_waitcnt vmcnt(11)
	v_mul_f64 v[170:171], v[104:105], v[210:211]
	v_mul_f64 v[14:15], v[106:107], v[210:211]
	v_fma_f64 v[30:31], v[62:63], s[6:7], v[30:31]
	v_add_f64 v[210:211], v[98:99], -v[94:95]
	v_fma_f64 v[92:93], v[92:93], -0.5, v[24:25]
	v_fma_f64 v[198:199], v[198:199], -0.5, v[24:25]
	v_add_f64 v[212:213], v[90:91], -v[116:117]
	v_add_f64 v[24:25], v[78:79], v[28:29]
	v_add_f64 v[54:55], v[166:167], v[88:89]
	v_add_f64 v[70:71], v[70:71], -v[74:75]
	v_add_f64 v[164:165], v[48:49], -v[130:131]
	v_add_f64 v[166:167], v[94:95], v[116:117]
	v_add_f64 v[78:79], v[98:99], -v[90:91]
	v_add_f64 v[44:45], v[74:75], v[42:43]
	;; [unrolled: 2-line block ×3, first 2 shown]
	v_fma_f64 v[32:33], v[40:41], s[6:7], v[52:53]
	v_fma_f64 v[52:53], v[62:63], s[16:17], v[76:77]
	;; [unrolled: 1-line block ×3, first 2 shown]
	v_add_f64 v[22:23], v[8:9], v[58:59]
	v_add_f64 v[8:9], v[94:95], -v[98:99]
	v_add_f64 v[58:59], v[116:117], -v[90:91]
	v_add_f64 v[56:57], v[116:117], v[26:27]
	v_add_f64 v[76:77], v[38:39], -v[88:89]
	v_fma_f64 v[30:31], v[96:97], s[14:15], v[30:31]
	v_add_f64 v[46:47], v[98:99], v[90:91]
	v_add_f64 v[90:91], v[88:89], -v[130:131]
	v_add_f64 v[94:95], v[94:95], -v[116:117]
	v_add_f64 v[98:99], v[48:49], v[130:131]
	v_add_f64 v[48:49], v[48:49], -v[38:39]
	v_add_f64 v[54:55], v[54:55], v[130:131]
	;; [unrolled: 2-line block ×3, first 2 shown]
	v_add_f64 v[68:69], v[68:69], v[80:81]
	v_add_f64 v[80:81], v[86:87], v[134:135]
	;; [unrolled: 1-line block ×5, first 2 shown]
	v_fma_f64 v[28:29], v[18:19], s[14:15], v[32:33]
	v_fma_f64 v[26:27], v[96:97], s[14:15], v[52:53]
	;; [unrolled: 1-line block ×7, first 2 shown]
	v_add_f64 v[66:67], v[86:87], -v[84:85]
	v_add_f64 v[174:175], v[134:135], -v[118:119]
	v_add_f64 v[176:177], v[188:189], v[200:201]
	v_add_f64 v[186:187], v[84:85], v[118:119]
	;; [unrolled: 1-line block ×5, first 2 shown]
	v_add_f64 v[196:197], v[36:37], -v[34:35]
	v_add_f64 v[8:9], v[8:9], v[58:59]
	v_add_f64 v[58:59], v[138:139], -v[136:137]
	v_add_f64 v[210:211], v[34:35], -v[36:37]
	;; [unrolled: 1-line block ×6, first 2 shown]
	v_fma_f64 v[166:167], v[166:167], -0.5, v[240:241]
	v_fma_f64 v[46:47], v[46:47], -0.5, v[240:241]
	v_add_f64 v[200:201], v[34:35], v[136:137]
	v_fma_f64 v[96:97], v[60:61], s[6:7], v[96:97]
	v_fma_f64 v[40:41], v[60:61], s[16:17], v[40:41]
	v_add_f64 v[60:61], v[124:125], v[34:35]
	v_fma_f64 v[156:157], v[158:159], s[16:17], v[156:157]
	v_fma_f64 v[62:63], v[158:159], s[6:7], v[62:63]
	v_add_f64 v[158:159], v[136:137], -v[138:139]
	v_add_f64 v[116:117], v[48:49], v[116:117]
	v_add_f64 v[48:49], v[36:37], v[138:139]
	v_fma_f64 v[98:99], v[98:99], -0.5, v[126:127]
	v_fma_f64 v[126:127], v[38:39], -0.5, v[126:127]
	v_add_f64 v[174:175], v[66:67], v[174:175]
	v_add_f64 v[66:67], v[142:143], -v[140:141]
	v_fma_f64 v[80:81], v[80:81], -0.5, v[232:233]
	v_fma_f64 v[186:187], v[186:187], -0.5, v[232:233]
	v_add_f64 v[232:233], v[146:147], -v[144:145]
	v_add_f64 v[50:51], v[84:85], v[50:51]
	v_add_f64 v[196:197], v[196:197], v[58:59]
	;; [unrolled: 1-line block ×3, first 2 shown]
	s_waitcnt lgkmcnt(1)
	v_mul_f64 v[132:133], v[100:101], v[180:181]
	s_waitcnt vmcnt(10) lgkmcnt(0)
	v_mul_f64 v[208:209], v[112:113], v[192:193]
	v_add_f64 v[74:75], v[74:75], v[90:91]
	v_add_f64 v[90:91], v[84:85], -v[118:119]
	v_add_f64 v[86:87], v[86:87], -v[134:135]
	v_fma_f64 v[40:41], v[68:69], s[14:15], v[40:41]
	v_add_f64 v[60:61], v[36:37], v[60:61]
	v_fma_f64 v[36:37], v[68:69], s[14:15], v[96:97]
	v_fma_f64 v[34:35], v[0:1], s[14:15], v[156:157]
	;; [unrolled: 1-line block ×5, first 2 shown]
	v_add_f64 v[68:69], v[140:141], v[144:145]
	v_add_f64 v[156:157], v[210:211], v[158:159]
	v_fma_f64 v[158:159], v[182:183], s[8:9], v[162:163]
	v_fma_f64 v[160:161], v[182:183], s[18:19], v[162:163]
	v_add_f64 v[212:213], v[140:141], -v[142:143]
	v_add_f64 v[18:19], v[52:53], v[18:19]
	v_add_f64 v[52:53], v[144:145], -v[146:147]
	v_add_f64 v[84:85], v[148:149], -v[150:151]
	;; [unrolled: 1-line block ×3, first 2 shown]
	v_fma_f64 v[162:163], v[200:201], -0.5, v[124:125]
	v_fma_f64 v[48:49], v[48:49], -0.5, v[124:125]
	v_fma_f64 v[124:125], v[64:65], s[8:9], v[92:93]
	v_fma_f64 v[92:93], v[64:65], s[18:19], v[92:93]
	v_add_f64 v[210:211], v[66:67], v[232:233]
	v_fma_f64 v[66:67], v[70:71], s[18:19], v[198:199]
	v_fma_f64 v[58:59], v[58:59], -0.5, v[234:235]
	v_add_f64 v[118:119], v[118:119], v[50:51]
	v_fma_f64 v[50:51], v[76:77], s[18:19], v[166:167]
	v_fma_f64 v[166:167], v[76:77], s[8:9], v[166:167]
	v_add_f64 v[138:139], v[60:61], v[138:139]
	v_fma_f64 v[60:61], v[164:165], s[8:9], v[46:47]
	v_fma_f64 v[46:47], v[164:165], s[18:19], v[46:47]
	;; [unrolled: 1-line block ×10, first 2 shown]
	v_fma_f64 v[68:69], v[68:69], -0.5, v[234:235]
	v_add_f64 v[200:201], v[212:213], v[52:53]
	v_add_f64 v[52:53], v[148:149], v[150:151]
	v_fma_f64 v[198:199], v[70:71], s[8:9], v[198:199]
	v_fma_f64 v[124:125], v[70:71], s[16:17], v[124:125]
	;; [unrolled: 1-line block ×19, first 2 shown]
	v_mul_f64 v[126:127], v[102:103], v[180:181]
	v_mul_f64 v[180:181], v[114:115], v[192:193]
	v_add_f64 v[102:103], v[142:143], v[234:235]
	v_fma_f64 v[234:235], v[84:85], s[18:19], v[68:69]
	v_fma_f64 v[80:81], v[82:83], s[8:9], v[80:81]
	;; [unrolled: 1-line block ×9, first 2 shown]
	v_fma_f64 v[194:195], v[52:53], -0.5, v[6:7]
	v_fma_f64 v[52:53], v[130:131], s[14:15], v[0:1]
	v_fma_f64 v[202:203], v[90:91], s[16:17], v[46:47]
	v_fma_f64 v[50:51], v[176:177], s[14:15], v[124:125]
	v_fma_f64 v[46:47], v[72:73], s[14:15], v[66:67]
	v_fma_f64 v[20:21], v[20:21], v[108:109], -v[122:123]
	v_fma_f64 v[244:245], v[84:85], s[16:17], v[58:59]
	v_fma_f64 v[58:59], v[176:177], s[14:15], v[70:71]
	;; [unrolled: 1-line block ×6, first 2 shown]
	v_add_f64 v[98:99], v[140:141], v[102:103]
	v_fma_f64 v[94:95], v[96:97], s[16:17], v[234:235]
	v_add_f64 v[102:103], v[132:133], v[106:107]
	v_fma_f64 v[88:89], v[88:89], s[16:17], v[80:81]
	v_fma_f64 v[170:171], v[82:83], s[6:7], v[64:65]
	;; [unrolled: 1-line block ×3, first 2 shown]
	v_add_f64 v[186:187], v[140:141], -v[144:145]
	v_fma_f64 v[86:87], v[86:87], s[6:7], v[162:163]
	v_fma_f64 v[90:91], v[90:91], s[6:7], v[48:49]
	;; [unrolled: 1-line block ×4, first 2 shown]
	v_add_f64 v[108:109], v[152:153], -v[148:149]
	v_fma_f64 v[126:127], v[12:13], v[100:101], -v[126:127]
	v_fma_f64 v[130:131], v[2:3], v[104:105], -v[14:15]
	v_fma_f64 v[64:65], v[168:169], s[14:15], v[160:161]
	v_add_f64 v[122:123], v[6:7], v[148:149]
	v_add_f64 v[148:149], v[148:149], -v[152:153]
	v_add_f64 v[160:161], v[150:151], -v[154:155]
	v_add_f64 v[162:163], v[152:153], v[154:155]
	v_add_f64 v[142:143], v[142:143], -v[146:147]
	v_fma_f64 v[78:79], v[116:117], s[14:15], v[78:79]
	v_fma_f64 v[248:249], v[18:19], s[14:15], v[92:93]
	v_add_f64 v[92:93], v[134:135], v[118:119]
	v_fma_f64 v[104:105], v[210:211], s[14:15], v[94:95]
	v_add_f64 v[98:99], v[144:145], v[98:99]
	v_fma_f64 v[48:49], v[168:169], s[14:15], v[158:159]
	v_fma_f64 v[252:253], v[174:175], s[14:15], v[170:171]
	v_fma_f64 v[250:251], v[156:157], s[14:15], v[202:203]
	v_fma_f64 v[116:117], v[186:187], s[8:9], v[194:195]
	v_fma_f64 v[144:145], v[186:187], s[18:19], v[194:195]
	v_fma_f64 v[76:77], v[188:189], s[14:15], v[164:165]
	s_waitcnt vmcnt(8)
	v_mul_f64 v[158:159], v[222:223], v[172:173]
	s_waitcnt vmcnt(7)
	v_mul_f64 v[164:165], v[226:227], v[190:191]
	v_mov_b32_e32 v255, v247
	v_mov_b32_e32 v254, v246
	v_add_f64 v[134:135], v[126:127], -v[130:131]
	v_fma_f64 v[80:81], v[8:9], s[14:15], v[232:233]
	v_add_f64 v[122:123], v[152:153], v[122:123]
	s_waitcnt vmcnt(6)
	v_mul_f64 v[152:153], v[230:231], v[184:185]
	v_add_f64 v[148:149], v[148:149], v[160:161]
	v_fma_f64 v[118:119], v[162:163], -0.5, v[6:7]
	v_fma_f64 v[62:63], v[72:73], s[14:15], v[198:199]
	v_fma_f64 v[72:73], v[188:189], s[14:15], v[212:213]
	;; [unrolled: 1-line block ×5, first 2 shown]
	s_waitcnt vmcnt(0)
	v_fma_f64 v[114:115], v[206:207], v[114:115], v[208:209]
	v_fma_f64 v[208:209], v[84:85], s[8:9], v[68:69]
	v_fma_f64 v[124:125], v[206:207], v[112:113], -v[180:181]
	v_add_f64 v[112:113], v[154:155], -v[150:151]
	v_fma_f64 v[84:85], v[18:19], s[14:15], v[88:89]
	v_fma_f64 v[88:89], v[174:175], s[14:15], v[82:83]
	;; [unrolled: 1-line block ×4, first 2 shown]
	v_add_f64 v[90:91], v[138:139], v[136:137]
	v_mul_f64 v[138:139], v[228:229], v[184:185]
	v_mul_f64 v[156:157], v[216:217], v[178:179]
	v_fma_f64 v[162:163], v[142:143], s[18:19], v[118:119]
	v_fma_f64 v[118:119], v[142:143], s[8:9], v[118:119]
	;; [unrolled: 1-line block ×3, first 2 shown]
	v_add_f64 v[166:167], v[110:111], -v[132:133]
	v_fma_f64 v[142:143], v[142:143], s[6:7], v[144:145]
	v_add_f64 v[144:145], v[126:127], v[130:131]
	v_add_f64 v[8:9], v[146:147], v[98:99]
	;; [unrolled: 1-line block ×3, first 2 shown]
	v_fma_f64 v[152:153], v[254:255], v[228:229], -v[152:153]
	v_fma_f64 v[196:197], v[200:201], s[14:15], v[239:240]
	v_add_f64 v[140:141], v[110:111], v[114:115]
	v_fma_f64 v[0:1], v[96:97], s[6:7], v[208:209]
	v_add_f64 v[94:95], v[20:21], -v[124:125]
	v_add_f64 v[168:169], v[114:115], -v[106:107]
	v_add_f64 v[146:147], v[20:21], v[124:125]
	v_fma_f64 v[138:139], v[254:255], v[230:231], v[138:139]
	v_fma_f64 v[4:5], v[10:11], v[214:215], -v[156:157]
	v_fma_f64 v[156:157], v[186:187], s[16:17], v[162:163]
	v_fma_f64 v[118:119], v[186:187], s[6:7], v[118:119]
	v_fma_f64 v[144:145], v[144:145], -0.5, v[120:121]
	v_add_f64 v[6:7], v[122:123], v[150:151]
	v_add_f64 v[122:123], v[120:121], v[126:127]
	v_fma_f64 v[136:137], v[140:141], -0.5, v[236:237]
	v_fma_f64 v[96:97], v[210:211], s[14:15], v[0:1]
	v_fma_f64 v[0:1], v[102:103], -0.5, v[236:237]
	v_add_f64 v[102:103], v[108:109], v[112:113]
	v_mul_f64 v[112:113], v[220:221], v[172:173]
	v_mul_f64 v[108:109], v[214:215], v[178:179]
	;; [unrolled: 1-line block ×3, first 2 shown]
	v_add_f64 v[178:179], v[132:133], v[236:237]
	v_add_f64 v[172:173], v[132:133], -v[110:111]
	v_add_f64 v[154:155], v[166:167], v[168:169]
	v_add_f64 v[132:133], v[132:133], -v[106:107]
	v_fma_f64 v[170:171], v[94:95], s[18:19], v[0:1]
	v_fma_f64 v[0:1], v[94:95], s[8:9], v[0:1]
	;; [unrolled: 1-line block ×7, first 2 shown]
	v_add_f64 v[108:109], v[106:107], -v[114:115]
	v_fma_f64 v[10:11], v[16:17], v[220:221], -v[158:159]
	v_fma_f64 v[158:159], v[204:205], v[224:225], -v[164:165]
	v_fma_f64 v[98:99], v[102:103], s[14:15], v[142:143]
	v_fma_f64 v[142:143], v[146:147], -0.5, v[120:121]
	v_fma_f64 v[194:195], v[102:103], s[14:15], v[116:117]
	v_fma_f64 v[102:103], v[148:149], s[14:15], v[118:119]
	;; [unrolled: 1-line block ×4, first 2 shown]
	s_clause 0x1
	buffer_load_dword v0, off, s[40:43], 0
	buffer_load_dword v1, off, s[40:43], 0 offset:4
	v_add_f64 v[170:171], v[110:111], v[178:179]
	v_add_f64 v[110:111], v[110:111], -v[114:115]
	v_add_f64 v[162:163], v[174:175], v[176:177]
	v_add_f64 v[168:169], v[138:139], v[140:141]
	;; [unrolled: 1-line block ×3, first 2 shown]
	v_fma_f64 v[136:137], v[94:95], s[16:17], v[136:137]
	v_add_f64 v[180:181], v[4:5], v[10:11]
	v_fma_f64 v[166:167], v[94:95], s[6:7], v[112:113]
	v_add_f64 v[118:119], v[152:153], v[158:159]
	v_add_f64 v[172:173], v[20:21], -v[126:127]
	v_add_f64 v[178:179], v[124:125], -v[130:131]
	;; [unrolled: 1-line block ×3, first 2 shown]
	v_fma_f64 v[94:95], v[148:149], s[14:15], v[156:157]
	v_add_f64 v[126:127], v[126:127], -v[20:21]
	v_add_f64 v[20:21], v[20:21], v[122:123]
	v_add_f64 v[122:123], v[128:129], v[4:5]
	;; [unrolled: 1-line block ×3, first 2 shown]
	v_add_f64 v[188:189], v[10:11], -v[158:159]
	v_add_f64 v[184:185], v[158:159], -v[10:11]
	v_fma_f64 v[108:109], v[154:155], s[14:15], v[160:161]
	v_fma_f64 v[112:113], v[154:155], s[14:15], v[134:135]
	v_add_f64 v[160:161], v[138:139], -v[140:141]
	v_add_f64 v[114:115], v[114:115], v[170:171]
	v_add_f64 v[170:171], v[138:139], -v[174:175]
	v_fma_f64 v[134:135], v[162:163], -0.5, v[242:243]
	v_fma_f64 v[148:149], v[168:169], -0.5, v[242:243]
	v_fma_f64 v[162:163], v[110:111], s[8:9], v[144:145]
	v_fma_f64 v[144:145], v[110:111], s[18:19], v[144:145]
	;; [unrolled: 1-line block ×5, first 2 shown]
	v_add_f64 v[136:137], v[4:5], -v[10:11]
	v_fma_f64 v[156:157], v[180:181], -0.5, v[128:129]
	v_fma_f64 v[116:117], v[164:165], s[14:15], v[166:167]
	v_add_f64 v[164:165], v[174:175], -v[176:177]
	v_fma_f64 v[118:119], v[118:119], -0.5, v[128:129]
	v_add_f64 v[154:155], v[172:173], v[178:179]
	v_add_f64 v[166:167], v[130:131], -v[124:125]
	v_add_f64 v[122:123], v[152:153], v[122:123]
	v_add_f64 v[172:173], v[140:141], -v[176:177]
	v_add_f64 v[174:175], v[174:175], -v[138:139]
	;; [unrolled: 1-line block ×3, first 2 shown]
	v_add_f64 v[138:139], v[138:139], v[150:151]
	v_add_f64 v[150:151], v[152:153], -v[4:5]
	v_add_f64 v[4:5], v[4:5], -v[152:153]
	v_add_f64 v[20:21], v[20:21], v[124:125]
	v_fma_f64 v[178:179], v[146:147], s[18:19], v[134:135]
	v_fma_f64 v[134:135], v[146:147], s[8:9], v[134:135]
	;; [unrolled: 1-line block ×6, first 2 shown]
	v_mul_hi_u32 v110, 0x551c979b, v238
	v_fma_f64 v[182:183], v[136:137], s[8:9], v[148:149]
	v_fma_f64 v[148:149], v[136:137], s[18:19], v[148:149]
	;; [unrolled: 1-line block ×5, first 2 shown]
	v_add_f64 v[124:125], v[106:107], v[114:115]
	v_add_f64 v[126:127], v[126:127], v[166:167]
	v_lshrrev_b32_e32 v110, 7, v110
	v_add_f64 v[152:153], v[170:171], v[172:173]
	v_add_f64 v[168:169], v[174:175], v[180:181]
	;; [unrolled: 1-line block ×3, first 2 shown]
	v_mul_u32_u24_e32 v110, 0x181, v110
	v_add_f64 v[174:175], v[4:5], v[188:189]
	v_add_f64 v[150:151], v[150:151], v[184:185]
	v_fma_f64 v[166:167], v[136:137], s[6:7], v[178:179]
	v_fma_f64 v[134:135], v[136:137], s[16:17], v[134:135]
	v_sub_nc_u32_e32 v178, v238, v110
	v_fma_f64 v[106:107], v[154:155], s[14:15], v[162:163]
	v_fma_f64 v[110:111], v[154:155], s[14:15], v[132:133]
	v_add_f64 v[154:155], v[122:123], v[158:159]
	v_add_f64 v[122:123], v[20:21], v[130:131]
	v_mad_u64_u32 v[158:159], null, s2, v178, 0
	v_fma_f64 v[170:171], v[146:147], s[6:7], v[182:183]
	v_fma_f64 v[146:147], v[146:147], s[16:17], v[148:149]
	;; [unrolled: 1-line block ×6, first 2 shown]
	v_mov_b32_e32 v20, v159
	v_fma_f64 v[118:119], v[126:127], s[14:15], v[142:143]
	v_add_nc_u32_e32 v142, 0x302, v178
	v_add_nc_u32_e32 v143, 0x483, v178
	v_fma_f64 v[114:115], v[126:127], s[14:15], v[144:145]
	v_mad_u64_u32 v[20:21], null, s3, v178, v[20:21]
	v_add_nc_u32_e32 v21, 0x181, v178
	v_add_f64 v[148:149], v[176:177], v[138:139]
	v_fma_f64 v[132:133], v[152:153], s[14:15], v[166:167]
	v_fma_f64 v[136:137], v[152:153], s[14:15], v[134:135]
	v_mad_u64_u32 v[152:153], null, s2, v143, 0
	v_mad_u64_u32 v[128:129], null, s2, v21, 0
	v_mov_b32_e32 v159, v20
	v_fma_f64 v[140:141], v[168:169], s[14:15], v[170:171]
	v_fma_f64 v[144:145], v[168:169], s[14:15], v[146:147]
	v_add_f64 v[146:147], v[154:155], v[10:11]
	v_add_nc_u32_e32 v155, 55, v238
	v_fma_f64 v[126:127], v[160:161], s[6:7], v[164:165]
	v_mov_b32_e32 v20, v129
	v_fma_f64 v[138:139], v[174:175], s[14:15], v[4:5]
	v_fma_f64 v[130:131], v[150:151], s[14:15], v[172:173]
	;; [unrolled: 1-line block ×3, first 2 shown]
	v_mad_u64_u32 v[150:151], null, s2, v142, 0
	v_mad_u64_u32 v[20:21], null, s3, v21, v[20:21]
	v_mul_hi_u32 v154, 0x551c979b, v155
	v_lshlrev_b64 v[10:11], 4, v[218:219]
	v_mov_b32_e32 v21, v151
	v_mov_b32_e32 v129, v20
	;; [unrolled: 1-line block ×3, first 2 shown]
	v_lshrrev_b32_e32 v156, 7, v154
	v_mad_u64_u32 v[153:154], null, s3, v142, v[21:22]
	v_mad_u64_u32 v[20:21], null, s3, v143, v[20:21]
	v_mul_u32_u24_e32 v21, 0x181, v156
	v_fma_f64 v[142:143], v[174:175], s[14:15], v[126:127]
	v_mov_b32_e32 v151, v153
	v_sub_nc_u32_e32 v126, v155, v21
	v_mov_b32_e32 v153, v20
	v_mad_u32_u24 v154, 0x785, v156, v126
	v_lshlrev_b64 v[126:127], 4, v[150:151]
	s_waitcnt vmcnt(0)
	v_lshlrev_b64 v[4:5], 4, v[0:1]
	v_add_co_u32 v4, vcc_lo, s10, v4
	v_add_co_ci_u32_e32 v5, vcc_lo, s11, v5, vcc_lo
	v_add_co_u32 v4, vcc_lo, v4, v10
	v_add_co_ci_u32_e32 v5, vcc_lo, v5, v11, vcc_lo
	v_lshlrev_b64 v[10:11], 4, v[158:159]
	v_add_co_u32 v10, vcc_lo, v4, v10
	v_add_co_ci_u32_e32 v11, vcc_lo, v5, v11, vcc_lo
	global_store_dwordx4 v[10:11], v[146:149], off
	v_add_nc_u32_e32 v148, 0x604, v178
	v_lshlrev_b64 v[10:11], 4, v[128:129]
	v_mad_u64_u32 v[146:147], null, s2, v154, 0
	v_lshlrev_b64 v[128:129], 4, v[152:153]
	v_mad_u64_u32 v[20:21], null, s2, v148, 0
	v_add_co_u32 v10, vcc_lo, v4, v10
	v_add_co_ci_u32_e32 v11, vcc_lo, v5, v11, vcc_lo
	v_add_co_u32 v126, vcc_lo, v4, v126
	v_mad_u64_u32 v[148:149], null, s3, v148, v[21:22]
	v_mov_b32_e32 v21, v147
	v_add_co_ci_u32_e32 v127, vcc_lo, v5, v127, vcc_lo
	v_add_co_u32 v128, vcc_lo, v4, v128
	v_add_co_ci_u32_e32 v129, vcc_lo, v5, v129, vcc_lo
	v_mad_u64_u32 v[149:150], null, s3, v154, v[21:22]
	global_store_dwordx4 v[10:11], v[142:145], off
	global_store_dwordx4 v[126:127], v[134:137], off
	;; [unrolled: 1-line block ×3, first 2 shown]
	v_add_nc_u32_e32 v134, 0x6e, v238
	v_mov_b32_e32 v21, v148
	v_add_nc_u32_e32 v130, 0x181, v154
	v_add_nc_u32_e32 v132, 0x302, v154
	;; [unrolled: 1-line block ×3, first 2 shown]
	v_mov_b32_e32 v147, v149
	v_mul_hi_u32 v133, 0x551c979b, v134
	v_lshlrev_b64 v[10:11], 4, v[20:21]
	v_mad_u64_u32 v[20:21], null, s2, v130, 0
	v_mad_u64_u32 v[126:127], null, s2, v132, 0
	v_lshlrev_b64 v[128:129], 4, v[146:147]
	v_add_co_u32 v10, vcc_lo, v4, v10
	v_lshrrev_b32_e32 v136, 7, v133
	v_add_co_ci_u32_e32 v11, vcc_lo, v5, v11, vcc_lo
	v_mad_u64_u32 v[130:131], null, s3, v130, v[21:22]
	v_mad_u64_u32 v[131:132], null, s3, v132, v[127:128]
	v_add_co_u32 v128, vcc_lo, v4, v128
	v_add_co_ci_u32_e32 v129, vcc_lo, v5, v129, vcc_lo
	v_mul_u32_u24_e32 v137, 0x181, v136
	v_mad_u64_u32 v[132:133], null, s2, v135, 0
	v_mov_b32_e32 v21, v130
	global_store_dwordx4 v[10:11], v[138:141], off
	global_store_dwordx4 v[128:129], v[122:125], off
	v_sub_nc_u32_e32 v124, v134, v137
	v_mov_b32_e32 v127, v131
	v_lshlrev_b64 v[10:11], 4, v[20:21]
	v_mov_b32_e32 v20, v133
	v_add_nc_u32_e32 v129, 0x604, v154
	v_mad_u32_u24 v134, 0x785, v136, v124
	v_lshlrev_b64 v[122:123], 4, v[126:127]
	v_mad_u64_u32 v[20:21], null, s3, v135, v[20:21]
	v_mad_u64_u32 v[124:125], null, s2, v129, 0
	;; [unrolled: 1-line block ×3, first 2 shown]
	v_add_co_u32 v10, vcc_lo, v4, v10
	v_mov_b32_e32 v133, v20
	v_add_co_ci_u32_e32 v11, vcc_lo, v5, v11, vcc_lo
	v_mov_b32_e32 v20, v125
	v_mov_b32_e32 v21, v127
	v_add_co_u32 v122, vcc_lo, v4, v122
	v_lshlrev_b64 v[127:128], 4, v[132:133]
	v_add_co_ci_u32_e32 v123, vcc_lo, v5, v123, vcc_lo
	v_mad_u64_u32 v[129:130], null, s3, v129, v[20:21]
	v_mad_u64_u32 v[20:21], null, s3, v134, v[21:22]
	v_add_nc_u32_e32 v21, 0x181, v134
	v_add_co_u32 v130, vcc_lo, v4, v127
	global_store_dwordx4 v[10:11], v[118:121], off
	global_store_dwordx4 v[122:123], v[110:113], off
	v_mad_u64_u32 v[132:133], null, s2, v21, 0
	v_add_nc_u32_e32 v112, 0xa5, v238
	v_add_co_ci_u32_e32 v131, vcc_lo, v5, v128, vcc_lo
	v_add_nc_u32_e32 v110, 0x302, v134
	v_mov_b32_e32 v125, v129
	v_mul_hi_u32 v111, 0x551c979b, v112
	v_mov_b32_e32 v127, v20
	global_store_dwordx4 v[130:131], v[106:109], off
	v_mov_b32_e32 v20, v133
	v_mad_u64_u32 v[108:109], null, s2, v110, 0
	v_lshlrev_b64 v[10:11], 4, v[124:125]
	v_add_nc_u32_e32 v118, 0x483, v134
	v_mad_u64_u32 v[20:21], null, s3, v21, v[20:21]
	v_lshrrev_b32_e32 v113, 7, v111
	v_lshlrev_b64 v[106:107], 4, v[126:127]
	v_mov_b32_e32 v21, v109
	v_add_co_u32 v10, vcc_lo, v4, v10
	v_add_co_ci_u32_e32 v11, vcc_lo, v5, v11, vcc_lo
	v_mul_u32_u24_e32 v109, 0x181, v113
	v_mov_b32_e32 v133, v20
	v_mad_u64_u32 v[20:21], null, s3, v110, v[21:22]
	v_mad_u64_u32 v[110:111], null, s2, v118, 0
	global_store_dwordx4 v[10:11], v[114:117], off
	v_sub_nc_u32_e32 v10, v112, v109
	v_add_nc_u32_e32 v112, 0x604, v134
	v_add_co_u32 v106, vcc_lo, v4, v106
	v_add_co_ci_u32_e32 v107, vcc_lo, v5, v107, vcc_lo
	v_mad_u32_u24 v113, 0x785, v113, v10
	v_mov_b32_e32 v2, v111
	v_mad_u64_u32 v[10:11], null, s2, v112, 0
	v_mov_b32_e32 v109, v20
	v_lshlrev_b64 v[0:1], 4, v[132:133]
	v_mad_u64_u32 v[2:3], null, s3, v118, v[2:3]
	global_store_dwordx4 v[106:107], v[6:9], off
	v_lshlrev_b64 v[106:107], 4, v[108:109]
	v_mov_b32_e32 v3, v11
	v_add_co_u32 v0, vcc_lo, v4, v0
	v_mad_u64_u32 v[20:21], null, s2, v113, 0
	v_mov_b32_e32 v111, v2
	v_mad_u64_u32 v[2:3], null, s3, v112, v[3:4]
	v_add_co_ci_u32_e32 v1, vcc_lo, v5, v1, vcc_lo
	v_add_nc_u32_e32 v3, 0x181, v113
	v_add_co_u32 v106, vcc_lo, v4, v106
	v_add_co_ci_u32_e32 v107, vcc_lo, v5, v107, vcc_lo
	global_store_dwordx4 v[0:1], v[102:105], off
	v_mad_u64_u32 v[102:103], null, s2, v3, 0
	v_mov_b32_e32 v11, v21
	global_store_dwordx4 v[106:107], v[98:101], off
	v_add_nc_u32_e32 v100, 0x302, v113
	v_add_nc_u32_e32 v106, 0xdc, v238
	;; [unrolled: 1-line block ×3, first 2 shown]
	v_mad_u64_u32 v[108:109], null, s3, v113, v[11:12]
	v_mov_b32_e32 v11, v2
	v_mov_b32_e32 v2, v103
	v_mad_u64_u32 v[98:99], null, s2, v100, 0
	v_lshlrev_b64 v[0:1], 4, v[110:111]
	v_lshlrev_b64 v[10:11], 4, v[10:11]
	v_mad_u64_u32 v[2:3], null, s3, v3, v[2:3]
	v_mov_b32_e32 v21, v108
	v_add_nc_u32_e32 v108, 0x604, v113
	v_mov_b32_e32 v3, v99
	v_add_co_u32 v0, vcc_lo, v4, v0
	v_lshlrev_b64 v[20:21], 4, v[20:21]
	v_mov_b32_e32 v103, v2
	v_mad_u64_u32 v[2:3], null, s3, v100, v[3:4]
	v_mul_hi_u32 v3, 0x551c979b, v106
	v_mad_u64_u32 v[100:101], null, s2, v107, 0
	v_mad_u64_u32 v[104:105], null, s2, v108, 0
	v_add_co_ci_u32_e32 v1, vcc_lo, v5, v1, vcc_lo
	v_add_co_u32 v10, vcc_lo, v4, v10
	v_lshrrev_b32_e32 v12, 7, v3
	v_add_co_ci_u32_e32 v11, vcc_lo, v5, v11, vcc_lo
	v_add_co_u32 v20, vcc_lo, v4, v20
	v_mov_b32_e32 v3, v101
	v_mov_b32_e32 v99, v2
	;; [unrolled: 1-line block ×3, first 2 shown]
	v_mul_u32_u24_e32 v13, 0x181, v12
	v_add_co_ci_u32_e32 v21, vcc_lo, v5, v21, vcc_lo
	global_store_dwordx4 v[0:1], v[194:197], off
	global_store_dwordx4 v[10:11], v[94:97], off
	;; [unrolled: 1-line block ×3, first 2 shown]
	v_mad_u64_u32 v[10:11], null, s3, v107, v[3:4]
	v_mad_u64_u32 v[2:3], null, s3, v108, v[2:3]
	v_sub_nc_u32_e32 v3, v106, v13
	v_lshlrev_b64 v[0:1], 4, v[102:103]
	v_mov_b32_e32 v101, v10
	v_mad_u32_u24 v93, 0x785, v12, v3
	v_lshlrev_b64 v[11:12], 4, v[98:99]
	v_add_co_u32 v0, vcc_lo, v4, v0
	v_add_co_ci_u32_e32 v1, vcc_lo, v5, v1, vcc_lo
	v_add_nc_u32_e32 v92, 0x181, v93
	v_mov_b32_e32 v105, v2
	v_mad_u64_u32 v[2:3], null, s2, v93, 0
	v_add_co_u32 v10, vcc_lo, v4, v11
	v_add_co_ci_u32_e32 v11, vcc_lo, v5, v12, vcc_lo
	v_lshlrev_b64 v[12:13], 4, v[100:101]
	v_mad_u64_u32 v[20:21], null, s2, v92, 0
	v_lshlrev_b64 v[14:15], 4, v[104:105]
	v_mad_u64_u32 v[90:91], null, s3, v93, v[3:4]
	v_add_co_u32 v12, vcc_lo, v4, v12
	v_add_co_ci_u32_e32 v13, vcc_lo, v5, v13, vcc_lo
	v_mov_b32_e32 v3, v21
	v_add_co_u32 v14, vcc_lo, v4, v14
	v_add_co_ci_u32_e32 v15, vcc_lo, v5, v15, vcc_lo
	v_mad_u64_u32 v[91:92], null, s3, v92, v[3:4]
	v_mov_b32_e32 v3, v90
	global_store_dwordx4 v[0:1], v[86:89], off
	global_store_dwordx4 v[10:11], v[82:85], off
	;; [unrolled: 1-line block ×4, first 2 shown]
	v_add_nc_u32_e32 v10, 0x302, v93
	v_add_nc_u32_e32 v15, 0x113, v238
	;; [unrolled: 1-line block ×3, first 2 shown]
	v_lshlrev_b64 v[0:1], 4, v[2:3]
	v_mov_b32_e32 v21, v91
	v_mad_u64_u32 v[2:3], null, s2, v10, 0
	v_mul_hi_u32 v11, 0x551c979b, v15
	v_mad_u64_u32 v[6:7], null, s2, v13, 0
	v_lshlrev_b64 v[8:9], 4, v[20:21]
	v_add_nc_u32_e32 v16, 0x604, v93
	v_add_co_u32 v0, vcc_lo, v4, v0
	v_add_co_ci_u32_e32 v1, vcc_lo, v5, v1, vcc_lo
	v_lshrrev_b32_e32 v17, 7, v11
	v_mad_u64_u32 v[10:11], null, s3, v10, v[3:4]
	v_mov_b32_e32 v3, v7
	v_mad_u64_u32 v[11:12], null, s2, v16, 0
	v_mul_u32_u24_e32 v18, 0x181, v17
	v_add_co_u32 v7, vcc_lo, v4, v8
	v_mad_u64_u32 v[13:14], null, s3, v13, v[3:4]
	v_mov_b32_e32 v3, v10
	v_add_co_ci_u32_e32 v8, vcc_lo, v5, v9, vcc_lo
	v_sub_nc_u32_e32 v9, v15, v18
	global_store_dwordx4 v[0:1], v[54:57], off
	global_store_dwordx4 v[7:8], v[78:81], off
	v_lshlrev_b64 v[1:2], 4, v[2:3]
	v_mov_b32_e32 v0, v12
	v_mad_u32_u24 v14, 0x785, v17, v9
	v_mov_b32_e32 v7, v13
	v_mad_u64_u32 v[8:9], null, s3, v16, v[0:1]
	v_mad_u64_u32 v[9:10], null, s2, v14, 0
	v_add_nc_u32_e32 v15, 0x181, v14
	v_add_co_u32 v0, vcc_lo, v4, v1
	v_add_co_ci_u32_e32 v1, vcc_lo, v5, v2, vcc_lo
	v_lshlrev_b64 v[2:3], 4, v[6:7]
	v_mov_b32_e32 v12, v8
	v_mad_u64_u32 v[7:8], null, s2, v15, 0
	v_mov_b32_e32 v6, v10
	v_add_co_u32 v2, vcc_lo, v4, v2
	v_lshlrev_b64 v[10:11], 4, v[11:12]
	v_add_co_ci_u32_e32 v3, vcc_lo, v5, v3, vcc_lo
	v_mad_u64_u32 v[12:13], null, s3, v14, v[6:7]
	global_store_dwordx4 v[0:1], v[74:77], off
	global_store_dwordx4 v[2:3], v[70:73], off
	v_mov_b32_e32 v0, v8
	v_add_co_u32 v1, vcc_lo, v4, v10
	v_add_co_ci_u32_e32 v2, vcc_lo, v5, v11, vcc_lo
	v_mov_b32_e32 v10, v12
	v_mad_u64_u32 v[11:12], null, s3, v15, v[0:1]
	v_add_nc_u32_e32 v12, 0x302, v14
	v_add_nc_u32_e32 v13, 0x483, v14
	global_store_dwordx4 v[1:2], v[66:69], off
	v_lshlrev_b64 v[0:1], 4, v[9:10]
	v_add_nc_u32_e32 v15, 0x14a, v238
	v_mad_u64_u32 v[2:3], null, s2, v12, 0
	v_mad_u64_u32 v[9:10], null, s2, v13, 0
	v_mov_b32_e32 v8, v11
	v_add_nc_u32_e32 v14, 0x604, v14
	v_add_co_u32 v0, vcc_lo, v4, v0
	v_add_co_ci_u32_e32 v1, vcc_lo, v5, v1, vcc_lo
	v_lshlrev_b64 v[6:7], 4, v[7:8]
	v_mov_b32_e32 v8, v10
	v_mad_u64_u32 v[10:11], null, s3, v12, v[3:4]
	v_mul_hi_u32 v3, 0x551c979b, v15
	global_store_dwordx4 v[0:1], v[42:45], off
	v_mad_u64_u32 v[11:12], null, s3, v13, v[8:9]
	v_mad_u64_u32 v[12:13], null, s2, v14, 0
	v_add_co_u32 v6, vcc_lo, v4, v6
	v_lshrrev_b32_e32 v16, 7, v3
	v_mov_b32_e32 v3, v10
	v_mov_b32_e32 v10, v11
	v_add_co_ci_u32_e32 v7, vcc_lo, v5, v7, vcc_lo
	v_mul_u32_u24_e32 v11, 0x181, v16
	v_lshlrev_b64 v[1:2], 4, v[2:3]
	v_mov_b32_e32 v0, v13
	global_store_dwordx4 v[6:7], v[62:65], off
	v_lshlrev_b64 v[6:7], 4, v[9:10]
	v_sub_nc_u32_e32 v3, v15, v11
	v_mad_u64_u32 v[8:9], null, s3, v14, v[0:1]
	v_add_co_u32 v0, vcc_lo, v4, v1
	v_mad_u32_u24 v14, 0x785, v16, v3
	v_add_co_ci_u32_e32 v1, vcc_lo, v5, v2, vcc_lo
	v_add_co_u32 v2, vcc_lo, v4, v6
	v_add_nc_u32_e32 v16, 0x302, v14
	v_add_co_ci_u32_e32 v3, vcc_lo, v5, v7, vcc_lo
	v_add_nc_u32_e32 v15, 0x181, v14
	v_mov_b32_e32 v13, v8
	v_mad_u64_u32 v[6:7], null, s2, v14, 0
	v_mad_u64_u32 v[8:9], null, s2, v16, 0
	global_store_dwordx4 v[0:1], v[58:61], off
	global_store_dwordx4 v[2:3], v[50:53], off
	v_mad_u64_u32 v[2:3], null, s2, v15, 0
	v_lshlrev_b64 v[0:1], 4, v[12:13]
	v_add_nc_u32_e32 v17, 0x483, v14
	v_mad_u64_u32 v[10:11], null, s3, v14, v[7:8]
	v_add_nc_u32_e32 v18, 0x604, v14
	v_mad_u64_u32 v[11:12], null, s3, v15, v[3:4]
	v_mov_b32_e32 v3, v9
	v_mad_u64_u32 v[12:13], null, s2, v17, 0
	v_add_co_u32 v0, vcc_lo, v4, v0
	v_add_co_ci_u32_e32 v1, vcc_lo, v5, v1, vcc_lo
	v_mad_u64_u32 v[14:15], null, s3, v16, v[3:4]
	v_mad_u64_u32 v[15:16], null, s2, v18, 0
	global_store_dwordx4 v[0:1], v[46:49], off
	v_mov_b32_e32 v0, v13
	v_mov_b32_e32 v3, v11
	;; [unrolled: 1-line block ×4, first 2 shown]
	v_mad_u64_u32 v[0:1], null, s3, v17, v[0:1]
	v_lshlrev_b64 v[2:3], 4, v[2:3]
	v_mov_b32_e32 v1, v16
	v_lshlrev_b64 v[6:7], 4, v[6:7]
	v_lshlrev_b64 v[8:9], 4, v[8:9]
	v_mad_u64_u32 v[10:11], null, s3, v18, v[1:2]
	v_add_co_u32 v6, vcc_lo, v4, v6
	v_mov_b32_e32 v13, v0
	v_add_co_ci_u32_e32 v7, vcc_lo, v5, v7, vcc_lo
	v_add_co_u32 v0, vcc_lo, v4, v2
	v_mov_b32_e32 v16, v10
	v_add_co_ci_u32_e32 v1, vcc_lo, v5, v3, vcc_lo
	v_lshlrev_b64 v[2:3], 4, v[12:13]
	v_add_co_u32 v8, vcc_lo, v4, v8
	v_lshlrev_b64 v[10:11], 4, v[15:16]
	v_add_co_ci_u32_e32 v9, vcc_lo, v5, v9, vcc_lo
	v_add_co_u32 v2, vcc_lo, v4, v2
	v_add_co_ci_u32_e32 v3, vcc_lo, v5, v3, vcc_lo
	v_add_co_u32 v4, vcc_lo, v4, v10
	v_add_co_ci_u32_e32 v5, vcc_lo, v5, v11, vcc_lo
	global_store_dwordx4 v[6:7], v[22:25], off
	global_store_dwordx4 v[0:1], v[38:41], off
	;; [unrolled: 1-line block ×5, first 2 shown]
.LBB0_23:
	s_endpgm
	.section	.rodata,"a",@progbits
	.p2align	6, 0x0
	.amdhsa_kernel fft_rtc_fwd_len1925_factors_7_11_5_5_wgs_55_tpt_55_halfLds_dp_op_CI_CI_sbrr_dirReg
		.amdhsa_group_segment_fixed_size 0
		.amdhsa_private_segment_fixed_size 272
		.amdhsa_kernarg_size 104
		.amdhsa_user_sgpr_count 6
		.amdhsa_user_sgpr_private_segment_buffer 1
		.amdhsa_user_sgpr_dispatch_ptr 0
		.amdhsa_user_sgpr_queue_ptr 0
		.amdhsa_user_sgpr_kernarg_segment_ptr 1
		.amdhsa_user_sgpr_dispatch_id 0
		.amdhsa_user_sgpr_flat_scratch_init 0
		.amdhsa_user_sgpr_private_segment_size 0
		.amdhsa_wavefront_size32 1
		.amdhsa_uses_dynamic_stack 0
		.amdhsa_system_sgpr_private_segment_wavefront_offset 1
		.amdhsa_system_sgpr_workgroup_id_x 1
		.amdhsa_system_sgpr_workgroup_id_y 0
		.amdhsa_system_sgpr_workgroup_id_z 0
		.amdhsa_system_sgpr_workgroup_info 0
		.amdhsa_system_vgpr_workitem_id 0
		.amdhsa_next_free_vgpr 256
		.amdhsa_next_free_sgpr 44
		.amdhsa_reserve_vcc 1
		.amdhsa_reserve_flat_scratch 0
		.amdhsa_float_round_mode_32 0
		.amdhsa_float_round_mode_16_64 0
		.amdhsa_float_denorm_mode_32 3
		.amdhsa_float_denorm_mode_16_64 3
		.amdhsa_dx10_clamp 1
		.amdhsa_ieee_mode 1
		.amdhsa_fp16_overflow 0
		.amdhsa_workgroup_processor_mode 1
		.amdhsa_memory_ordered 1
		.amdhsa_forward_progress 0
		.amdhsa_shared_vgpr_count 0
		.amdhsa_exception_fp_ieee_invalid_op 0
		.amdhsa_exception_fp_denorm_src 0
		.amdhsa_exception_fp_ieee_div_zero 0
		.amdhsa_exception_fp_ieee_overflow 0
		.amdhsa_exception_fp_ieee_underflow 0
		.amdhsa_exception_fp_ieee_inexact 0
		.amdhsa_exception_int_div_zero 0
	.end_amdhsa_kernel
	.text
.Lfunc_end0:
	.size	fft_rtc_fwd_len1925_factors_7_11_5_5_wgs_55_tpt_55_halfLds_dp_op_CI_CI_sbrr_dirReg, .Lfunc_end0-fft_rtc_fwd_len1925_factors_7_11_5_5_wgs_55_tpt_55_halfLds_dp_op_CI_CI_sbrr_dirReg
                                        ; -- End function
	.section	.AMDGPU.csdata,"",@progbits
; Kernel info:
; codeLenInByte = 35700
; NumSgprs: 46
; NumVgprs: 256
; ScratchSize: 272
; MemoryBound: 1
; FloatMode: 240
; IeeeMode: 1
; LDSByteSize: 0 bytes/workgroup (compile time only)
; SGPRBlocks: 5
; VGPRBlocks: 31
; NumSGPRsForWavesPerEU: 46
; NumVGPRsForWavesPerEU: 256
; Occupancy: 4
; WaveLimiterHint : 1
; COMPUTE_PGM_RSRC2:SCRATCH_EN: 1
; COMPUTE_PGM_RSRC2:USER_SGPR: 6
; COMPUTE_PGM_RSRC2:TRAP_HANDLER: 0
; COMPUTE_PGM_RSRC2:TGID_X_EN: 1
; COMPUTE_PGM_RSRC2:TGID_Y_EN: 0
; COMPUTE_PGM_RSRC2:TGID_Z_EN: 0
; COMPUTE_PGM_RSRC2:TIDIG_COMP_CNT: 0
	.text
	.p2alignl 6, 3214868480
	.fill 48, 4, 3214868480
	.type	__hip_cuid_f9e506c84feeb6a,@object ; @__hip_cuid_f9e506c84feeb6a
	.section	.bss,"aw",@nobits
	.globl	__hip_cuid_f9e506c84feeb6a
__hip_cuid_f9e506c84feeb6a:
	.byte	0                               ; 0x0
	.size	__hip_cuid_f9e506c84feeb6a, 1

	.ident	"AMD clang version 19.0.0git (https://github.com/RadeonOpenCompute/llvm-project roc-6.4.0 25133 c7fe45cf4b819c5991fe208aaa96edf142730f1d)"
	.section	".note.GNU-stack","",@progbits
	.addrsig
	.addrsig_sym __hip_cuid_f9e506c84feeb6a
	.amdgpu_metadata
---
amdhsa.kernels:
  - .args:
      - .actual_access:  read_only
        .address_space:  global
        .offset:         0
        .size:           8
        .value_kind:     global_buffer
      - .offset:         8
        .size:           8
        .value_kind:     by_value
      - .actual_access:  read_only
        .address_space:  global
        .offset:         16
        .size:           8
        .value_kind:     global_buffer
      - .actual_access:  read_only
        .address_space:  global
        .offset:         24
        .size:           8
        .value_kind:     global_buffer
      - .actual_access:  read_only
        .address_space:  global
        .offset:         32
        .size:           8
        .value_kind:     global_buffer
      - .offset:         40
        .size:           8
        .value_kind:     by_value
      - .actual_access:  read_only
        .address_space:  global
        .offset:         48
        .size:           8
        .value_kind:     global_buffer
      - .actual_access:  read_only
        .address_space:  global
        .offset:         56
        .size:           8
        .value_kind:     global_buffer
      - .offset:         64
        .size:           4
        .value_kind:     by_value
      - .actual_access:  read_only
        .address_space:  global
        .offset:         72
        .size:           8
        .value_kind:     global_buffer
      - .actual_access:  read_only
        .address_space:  global
        .offset:         80
        .size:           8
        .value_kind:     global_buffer
      - .actual_access:  read_only
        .address_space:  global
        .offset:         88
        .size:           8
        .value_kind:     global_buffer
      - .actual_access:  write_only
        .address_space:  global
        .offset:         96
        .size:           8
        .value_kind:     global_buffer
    .group_segment_fixed_size: 0
    .kernarg_segment_align: 8
    .kernarg_segment_size: 104
    .language:       OpenCL C
    .language_version:
      - 2
      - 0
    .max_flat_workgroup_size: 55
    .name:           fft_rtc_fwd_len1925_factors_7_11_5_5_wgs_55_tpt_55_halfLds_dp_op_CI_CI_sbrr_dirReg
    .private_segment_fixed_size: 272
    .sgpr_count:     46
    .sgpr_spill_count: 0
    .symbol:         fft_rtc_fwd_len1925_factors_7_11_5_5_wgs_55_tpt_55_halfLds_dp_op_CI_CI_sbrr_dirReg.kd
    .uniform_work_group_size: 1
    .uses_dynamic_stack: false
    .vgpr_count:     256
    .vgpr_spill_count: 70
    .wavefront_size: 32
    .workgroup_processor_mode: 1
amdhsa.target:   amdgcn-amd-amdhsa--gfx1030
amdhsa.version:
  - 1
  - 2
...

	.end_amdgpu_metadata
